;; amdgpu-corpus repo=ROCm/aiter kind=harvested arch=n/a opt=n/a

/root/src/amdgpu-assembly/repos/ROCm__aiter/hsa/gfx942/fmoe_2stages/fmoe_stage1_bf16_pertokenFp8_doweight_g1u1_64x256_pf2.co:	file format elf64-amdgpu

Disassembly of section .text:

0000000000002a00 <_ZN5aiter53fmoe_stage1_bf16_pertokenFp8_doweight_g1u1_64x256_pf2E>:
	s_and_b32 s1, s1, 0xffff                                   // 000000002A00: 8601FF01 0000FFFF
	s_load_dwordx2 s[8:9], s[0:1], 0x0                         // 000000002A08: C0060200 00000000
	s_load_dwordx2 s[20:21], s[0:1], 0x10                      // 000000002A10: C0060500 00000010
	s_load_dwordx2 s[24:25], s[0:1], 0x20                      // 000000002A18: C0060600 00000020
	s_load_dwordx2 s[48:49], s[0:1], 0x30                      // 000000002A20: C0060C00 00000030
	s_load_dwordx2 s[28:29], s[0:1], 0x40                      // 000000002A28: C0060700 00000040
	s_load_dwordx2 s[32:33], s[0:1], 0x50                      // 000000002A30: C0060800 00000050
	s_load_dwordx2 s[36:37], s[0:1], 0x60                      // 000000002A38: C0060900 00000060
	s_load_dwordx2 s[12:13], s[0:1], 0x70                      // 000000002A40: C0060300 00000070
	s_load_dwordx2 s[44:45], s[0:1], 0x80                      // 000000002A48: C0060B00 00000080
	s_mov_b32 s89, 0                                           // 000000002A50: BED90080
	s_load_dword s64, s[0:1], 0x90                             // 000000002A54: C0021000 00000090
	s_load_dword s65, s[0:1], 0xa0                             // 000000002A5C: C0021040 000000A0
	s_load_dword s66, s[0:1], 0xb0                             // 000000002A64: C0021080 000000B0
	s_load_dword s67, s[0:1], 0xc0                             // 000000002A6C: C00210C0 000000C0
	s_load_dword s68, s[0:1], 0xd0                             // 000000002A74: C0021100 000000D0
	s_load_dword s69, s[0:1], 0xe0                             // 000000002A7C: C0021140 000000E0
	s_load_dword s71, s[0:1], 0xf0                             // 000000002A84: C00211C0 000000F0
	s_load_dword s72, s[0:1], 0x100                            // 000000002A8C: C0021200 00000100
	s_load_dword s74, s[0:1], 0x110                            // 000000002A94: C0021280 00000110
	s_load_dword s76, s[0:1], 0x120                            // 000000002A9C: C0021300 00000120
	s_load_dword s56, s[0:1], 0x130                            // 000000002AA4: C0020E00 00000130
	s_load_dword s88, s[0:1], 0x140                            // 000000002AAC: C0021600 00000140
	s_load_dword s89, s[0:1], 0x150                            // 000000002AB4: C0021640 00000150
	s_load_dwordx2 s[40:41], s[0:1], 0x160                     // 000000002ABC: C0060A00 00000160
	v_lshrrev_b32_e32 v1, 10, v0                               // 000000002AC4: 2002008A
	v_lshrrev_b32_e32 v2, 10, v1                               // 000000002AC8: 2004028A
	v_and_b32_e32 v2, 0x3ff, v2                                // 000000002ACC: 260404FF 000003FF
	v_and_b32_e32 v1, 0x3ff, v1                                // 000000002AD4: 260202FF 000003FF
	v_and_b32_e32 v0, 0x3ff, v0                                // 000000002ADC: 260000FF 000003FF
	v_lshrrev_b32_e32 v3, 6, v0                                // 000000002AE4: 20060086
	v_and_b32_e32 v0, 63, v0                                   // 000000002AE8: 260000BF
	s_mov_b32 s2, s2                                           // 000000002AEC: BE820002
	s_mov_b32 s3, s3                                           // 000000002AF0: BE830003
	s_mov_b32 s4, s4                                           // 000000002AF4: BE840004
	v_readfirstlane_b32 s7, v3                                 // 000000002AF8: 7E0E0503
	s_waitcnt lgkmcnt(0)                                       // 000000002AFC: BF8CC07F
	s_and_b32 s49, s49, 0xffff                                 // 000000002B00: 8631FF31 0000FFFF
	s_load_dword s48, s[48:49], 0x0                            // 000000002B08: C0020C18 00000000
	s_and_b32 s45, s45, 0xffff                                 // 000000002B10: 862DFF2D 0000FFFF
	s_and_b32 s9, s9, 0xffff                                   // 000000002B18: 8609FF09 0000FFFF
	s_mul_i32 s60, s66, s68                                    // 000000002B20: 923C4442
	s_mul_i32 s61, s66, 4                                      // 000000002B24: 923D8442
	s_mov_b32 s22, s60                                         // 000000002B28: BE96003C
	s_mov_b32 s26, -16                                         // 000000002B2C: BE9A00D0
	s_mov_b32 s30, s61                                         // 000000002B30: BE9E003D
	s_mov_b32 s14, 0x100                                       // 000000002B34: BE8E00FF 00000100
	s_mov_b32 s38, -16                                         // 000000002B3C: BEA600D0
	s_mov_b32 s10, -16                                         // 000000002B40: BE8A00D0
	s_mov_b32 s34, 0x400                                       // 000000002B44: BEA200FF 00000400
	s_mov_b32 s23, 0x20000                                     // 000000002B4C: BE9700FF 00020000
	s_mov_b32 s27, 0x20000                                     // 000000002B54: BE9B00FF 00020000
	s_mov_b32 s31, 0x20000                                     // 000000002B5C: BE9F00FF 00020000
	s_mov_b32 s35, 0x20000                                     // 000000002B64: BEA300FF 00020000
	s_mov_b32 s15, 0x20000                                     // 000000002B6C: BE8F00FF 00020000
	s_mov_b32 s39, 0x20000                                     // 000000002B74: BEA700FF 00020000
	s_mov_b32 s11, 0x20000                                     // 000000002B7C: BE8B00FF 00020000
	s_and_b32 s21, s21, 0xffff                                 // 000000002B84: 8615FF15 0000FFFF
	s_and_b32 s25, s25, 0xffff                                 // 000000002B8C: 8619FF19 0000FFFF
	s_and_b32 s29, s29, 0xffff                                 // 000000002B94: 861DFF1D 0000FFFF
	s_and_b32 s33, s33, 0xffff                                 // 000000002B9C: 8621FF21 0000FFFF
	s_and_b32 s13, s13, 0xffff                                 // 000000002BA4: 860DFF0D 0000FFFF
	s_and_b32 s37, s37, 0xffff                                 // 000000002BAC: 8625FF25 0000FFFF
	s_or_b32 s21, s21, 0x40000                                 // 000000002BB4: 8715FF15 00040000
	s_or_b32 s25, s25, 0x40000                                 // 000000002BBC: 8719FF19 00040000
	s_or_b32 s29, s29, 0x40000                                 // 000000002BC4: 871DFF1D 00040000
	s_or_b32 s33, s33, 0x40000                                 // 000000002BCC: 8721FF21 00040000
	s_or_b32 s13, s13, 0x40000                                 // 000000002BD4: 870DFF0D 00040000
	s_or_b32 s37, s37, 0x40000                                 // 000000002BDC: 8725FF25 00040000
	s_mov_b32 s42, -16                                         // 000000002BE4: BEAA00D0
	s_mov_b32 s43, 0x20000                                     // 000000002BE8: BEAB00FF 00020000
	s_and_b32 s41, s41, 0xffff                                 // 000000002BF0: 8629FF29 0000FFFF
	s_or_b32 s41, s41, 0x40000                                 // 000000002BF8: 8729FF29 00040000
	v_accvgpr_write_b32 a127, 0                                // 000000002C00: D3D9407F 18000080
	v_mov_b32_e32 v187, 0                                      // 000000002C08: 7F760280
	s_waitcnt lgkmcnt(0)                                       // 000000002C0C: BF8CC07F
	s_mul_i32 s60, s3, 64                                      // 000000002C10: 923CC003
	s_cmp_lt_i32 s60, s48                                      // 000000002C14: BF04303C
	s_cbranch_scc0 label_269D                                  // 000000002C18: BF842613
	s_mov_b32 s80, 0                                           // 000000002C1C: BED00080
	s_lshr_b32 s81, s64, s88                                   // 000000002C20: 8F515840
	s_mul_i32 s60, s3, 4                                       // 000000002C24: 923C8403
	s_add_u32 s44, s60, s44                                    // 000000002C28: 802C2C3C
	s_addc_u32 s45, 0, s45                                     // 000000002C2C: 822D2D80
	s_load_dword s5, s[44:45], 0x0                             // 000000002C30: C0020156 00000000
	s_mul_i32 s60, s3, 64                                      // 000000002C38: 923CC003
	s_mul_i32 s60, 4, s60                                      // 000000002C3C: 923C3C84
	s_add_u32 s12, s60, s12                                    // 000000002C40: 800C0C3C
	s_addc_u32 s13, 0, s13                                     // 000000002C44: 820D0D80
	v_and_b32_e32 v4, 15, v0                                   // 000000002C48: 2608008F
	v_lshlrev_b32_e32 v4, 2, v4                                // 000000002C4C: 24080882
	buffer_load_dword v28, v4, s[12:15], 0 offen               // 000000002C50: E0501000 80031C04
	v_add_u32_e32 v4, 64, v4                                   // 000000002C58: 680808C0
	buffer_load_dword v29, v4, s[12:15], 0 offen               // 000000002C5C: E0501000 80031D04
	v_add_u32_e32 v4, 64, v4                                   // 000000002C64: 680808C0
	buffer_load_dword v30, v4, s[12:15], 0 offen               // 000000002C68: E0501000 80031E04
	v_add_u32_e32 v4, 64, v4                                   // 000000002C70: 680808C0
	buffer_load_dword v31, v4, s[12:15], 0 offen               // 000000002C74: E0501000 80031F04
	v_add_u32_e32 v4, 64, v4                                   // 000000002C7C: 680808C0
	s_mul_i32 s60, 4, s7                                       // 000000002C80: 923C0784
	v_lshlrev_b32_e32 v4, 4, v0                                // 000000002C84: 24080084
	v_add_u32_e32 v4, s60, v4                                  // 000000002C88: 6808083C
	buffer_load_dword v3, v4, s[12:15], 0 offen                // 000000002C8C: E0501000 80030304
	v_mov_b32_e32 v56, 0                                       // 000000002C94: 7E700280
	v_mov_b32_e32 v120, 0                                      // 000000002C98: 7EF00280
	v_mov_b32_e32 v57, 0                                       // 000000002C9C: 7E720280
	v_mov_b32_e32 v121, 0                                      // 000000002CA0: 7EF20280
	v_mov_b32_e32 v58, 0                                       // 000000002CA4: 7E740280
	v_mov_b32_e32 v122, 0                                      // 000000002CA8: 7EF40280
	v_mov_b32_e32 v59, 0                                       // 000000002CAC: 7E760280
	v_mov_b32_e32 v123, 0                                      // 000000002CB0: 7EF60280
	v_mov_b32_e32 v60, 0                                       // 000000002CB4: 7E780280
	v_mov_b32_e32 v124, 0                                      // 000000002CB8: 7EF80280
	v_mov_b32_e32 v61, 0                                       // 000000002CBC: 7E7A0280
	v_mov_b32_e32 v125, 0                                      // 000000002CC0: 7EFA0280
	v_mov_b32_e32 v62, 0                                       // 000000002CC4: 7E7C0280
	v_mov_b32_e32 v126, 0                                      // 000000002CC8: 7EFC0280
	v_mov_b32_e32 v63, 0                                       // 000000002CCC: 7E7E0280
	v_mov_b32_e32 v127, 0                                      // 000000002CD0: 7EFE0280
	v_mov_b32_e32 v64, 0                                       // 000000002CD4: 7E800280
	v_mov_b32_e32 v128, 0                                      // 000000002CD8: 7F000280
	v_mov_b32_e32 v65, 0                                       // 000000002CDC: 7E820280
	v_mov_b32_e32 v129, 0                                      // 000000002CE0: 7F020280
	v_mov_b32_e32 v66, 0                                       // 000000002CE4: 7E840280
	v_mov_b32_e32 v130, 0                                      // 000000002CE8: 7F040280
	v_mov_b32_e32 v67, 0                                       // 000000002CEC: 7E860280
	v_mov_b32_e32 v131, 0                                      // 000000002CF0: 7F060280
	v_mov_b32_e32 v68, 0                                       // 000000002CF4: 7E880280
	v_mov_b32_e32 v132, 0                                      // 000000002CF8: 7F080280
	v_mov_b32_e32 v69, 0                                       // 000000002CFC: 7E8A0280
	v_mov_b32_e32 v133, 0                                      // 000000002D00: 7F0A0280
	v_mov_b32_e32 v70, 0                                       // 000000002D04: 7E8C0280
	v_mov_b32_e32 v134, 0                                      // 000000002D08: 7F0C0280
	v_mov_b32_e32 v71, 0                                       // 000000002D0C: 7E8E0280
	v_mov_b32_e32 v135, 0                                      // 000000002D10: 7F0E0280
	v_mov_b32_e32 v72, 0                                       // 000000002D14: 7E900280
	v_mov_b32_e32 v136, 0                                      // 000000002D18: 7F100280
	v_mov_b32_e32 v73, 0                                       // 000000002D1C: 7E920280
	v_mov_b32_e32 v137, 0                                      // 000000002D20: 7F120280
	v_mov_b32_e32 v74, 0                                       // 000000002D24: 7E940280
	v_mov_b32_e32 v138, 0                                      // 000000002D28: 7F140280
	v_mov_b32_e32 v75, 0                                       // 000000002D2C: 7E960280
	v_mov_b32_e32 v139, 0                                      // 000000002D30: 7F160280
	v_mov_b32_e32 v76, 0                                       // 000000002D34: 7E980280
	v_mov_b32_e32 v140, 0                                      // 000000002D38: 7F180280
	v_mov_b32_e32 v77, 0                                       // 000000002D3C: 7E9A0280
	v_mov_b32_e32 v141, 0                                      // 000000002D40: 7F1A0280
	v_mov_b32_e32 v78, 0                                       // 000000002D44: 7E9C0280
	v_mov_b32_e32 v142, 0                                      // 000000002D48: 7F1C0280
	v_mov_b32_e32 v79, 0                                       // 000000002D4C: 7E9E0280
	v_mov_b32_e32 v143, 0                                      // 000000002D50: 7F1E0280
	v_mov_b32_e32 v80, 0                                       // 000000002D54: 7EA00280
	v_mov_b32_e32 v144, 0                                      // 000000002D58: 7F200280
	v_mov_b32_e32 v81, 0                                       // 000000002D5C: 7EA20280
	v_mov_b32_e32 v145, 0                                      // 000000002D60: 7F220280
	v_mov_b32_e32 v82, 0                                       // 000000002D64: 7EA40280
	v_mov_b32_e32 v146, 0                                      // 000000002D68: 7F240280
	v_mov_b32_e32 v83, 0                                       // 000000002D6C: 7EA60280
	v_mov_b32_e32 v147, 0                                      // 000000002D70: 7F260280
	v_mov_b32_e32 v84, 0                                       // 000000002D74: 7EA80280
	v_mov_b32_e32 v148, 0                                      // 000000002D78: 7F280280
	v_mov_b32_e32 v85, 0                                       // 000000002D7C: 7EAA0280
	v_mov_b32_e32 v149, 0                                      // 000000002D80: 7F2A0280
	v_mov_b32_e32 v86, 0                                       // 000000002D84: 7EAC0280
	v_mov_b32_e32 v150, 0                                      // 000000002D88: 7F2C0280
	v_mov_b32_e32 v87, 0                                       // 000000002D8C: 7EAE0280
	v_mov_b32_e32 v151, 0                                      // 000000002D90: 7F2E0280
	v_mov_b32_e32 v88, 0                                       // 000000002D94: 7EB00280
	v_mov_b32_e32 v152, 0                                      // 000000002D98: 7F300280
	v_mov_b32_e32 v89, 0                                       // 000000002D9C: 7EB20280
	v_mov_b32_e32 v153, 0                                      // 000000002DA0: 7F320280
	v_mov_b32_e32 v90, 0                                       // 000000002DA4: 7EB40280
	v_mov_b32_e32 v154, 0                                      // 000000002DA8: 7F340280
	v_mov_b32_e32 v91, 0                                       // 000000002DAC: 7EB60280
	v_mov_b32_e32 v155, 0                                      // 000000002DB0: 7F360280
	v_mov_b32_e32 v92, 0                                       // 000000002DB4: 7EB80280
	v_mov_b32_e32 v156, 0                                      // 000000002DB8: 7F380280
	v_mov_b32_e32 v93, 0                                       // 000000002DBC: 7EBA0280
	v_mov_b32_e32 v157, 0                                      // 000000002DC0: 7F3A0280
	v_mov_b32_e32 v94, 0                                       // 000000002DC4: 7EBC0280
	v_mov_b32_e32 v158, 0                                      // 000000002DC8: 7F3C0280
	v_mov_b32_e32 v95, 0                                       // 000000002DCC: 7EBE0280
	v_mov_b32_e32 v159, 0                                      // 000000002DD0: 7F3E0280
	v_mov_b32_e32 v96, 0                                       // 000000002DD4: 7EC00280
	v_mov_b32_e32 v160, 0                                      // 000000002DD8: 7F400280
	v_mov_b32_e32 v97, 0                                       // 000000002DDC: 7EC20280
	v_mov_b32_e32 v161, 0                                      // 000000002DE0: 7F420280
	v_mov_b32_e32 v98, 0                                       // 000000002DE4: 7EC40280
	v_mov_b32_e32 v162, 0                                      // 000000002DE8: 7F440280
	v_mov_b32_e32 v99, 0                                       // 000000002DEC: 7EC60280
	v_mov_b32_e32 v163, 0                                      // 000000002DF0: 7F460280
	v_mov_b32_e32 v100, 0                                      // 000000002DF4: 7EC80280
	v_mov_b32_e32 v164, 0                                      // 000000002DF8: 7F480280
	v_mov_b32_e32 v101, 0                                      // 000000002DFC: 7ECA0280
	v_mov_b32_e32 v165, 0                                      // 000000002E00: 7F4A0280
	v_mov_b32_e32 v102, 0                                      // 000000002E04: 7ECC0280
	v_mov_b32_e32 v166, 0                                      // 000000002E08: 7F4C0280
	v_mov_b32_e32 v103, 0                                      // 000000002E0C: 7ECE0280
	v_mov_b32_e32 v167, 0                                      // 000000002E10: 7F4E0280
	v_mov_b32_e32 v104, 0                                      // 000000002E14: 7ED00280
	v_mov_b32_e32 v168, 0                                      // 000000002E18: 7F500280
	v_mov_b32_e32 v105, 0                                      // 000000002E1C: 7ED20280
	v_mov_b32_e32 v169, 0                                      // 000000002E20: 7F520280
	v_mov_b32_e32 v106, 0                                      // 000000002E24: 7ED40280
	v_mov_b32_e32 v170, 0                                      // 000000002E28: 7F540280
	v_mov_b32_e32 v107, 0                                      // 000000002E2C: 7ED60280
	v_mov_b32_e32 v171, 0                                      // 000000002E30: 7F560280
	v_mov_b32_e32 v108, 0                                      // 000000002E34: 7ED80280
	v_mov_b32_e32 v172, 0                                      // 000000002E38: 7F580280
	v_mov_b32_e32 v109, 0                                      // 000000002E3C: 7EDA0280
	v_mov_b32_e32 v173, 0                                      // 000000002E40: 7F5A0280
	v_mov_b32_e32 v110, 0                                      // 000000002E44: 7EDC0280
	v_mov_b32_e32 v174, 0                                      // 000000002E48: 7F5C0280
	v_mov_b32_e32 v111, 0                                      // 000000002E4C: 7EDE0280
	v_mov_b32_e32 v175, 0                                      // 000000002E50: 7F5E0280
	v_mov_b32_e32 v112, 0                                      // 000000002E54: 7EE00280
	v_mov_b32_e32 v176, 0                                      // 000000002E58: 7F600280
	v_mov_b32_e32 v113, 0                                      // 000000002E5C: 7EE20280
	v_mov_b32_e32 v177, 0                                      // 000000002E60: 7F620280
	v_mov_b32_e32 v114, 0                                      // 000000002E64: 7EE40280
	v_mov_b32_e32 v178, 0                                      // 000000002E68: 7F640280
	v_mov_b32_e32 v115, 0                                      // 000000002E6C: 7EE60280
	v_mov_b32_e32 v179, 0                                      // 000000002E70: 7F660280
	v_mov_b32_e32 v116, 0                                      // 000000002E74: 7EE80280
	v_mov_b32_e32 v180, 0                                      // 000000002E78: 7F680280
	v_mov_b32_e32 v117, 0                                      // 000000002E7C: 7EEA0280
	v_mov_b32_e32 v181, 0                                      // 000000002E80: 7F6A0280
	v_mov_b32_e32 v118, 0                                      // 000000002E84: 7EEC0280
	v_mov_b32_e32 v182, 0                                      // 000000002E88: 7F6C0280
	v_mov_b32_e32 v119, 0                                      // 000000002E8C: 7EEE0280
	v_mov_b32_e32 v183, 0                                      // 000000002E90: 7F6E0280
	s_mul_i32 s60, s2, 0x200                                   // 000000002E94: 923CFF02 00000200
	s_cmp_eq_u32 s88, 0                                        // 000000002E9C: BF068058
	s_cselect_b32 s61, 1, 2                                    // 000000002EA0: 853D8281
	s_mul_i32 s60, s60, s61                                    // 000000002EA4: 923C3D3C
	s_mov_b32 s90, s8                                          // 000000002EA8: BEDA0008
	s_mov_b32 s91, s9                                          // 000000002EAC: BEDB0009
	s_add_u32 s8, s60, s8                                      // 000000002EB0: 8008083C
	s_addc_u32 s9, 0, s9                                       // 000000002EB4: 82090980
	v_lshrrev_b32_e32 v4, 4, v0                                // 000000002EB8: 20080084
	v_mul_lo_u32 v20, 34, v4                                   // 000000002EBC: D2850014 000208A2
	v_and_b32_e32 v4, 15, v0                                   // 000000002EC4: 2608008F
	v_mul_lo_u32 v5, 2, v4                                     // 000000002EC8: D2850005 00020882
	v_add_u32_e32 v20, v5, v20                                 // 000000002ED0: 68282905
	s_mul_i32 s60, s7, 0x88                                    // 000000002ED4: 923CFF07 00000088
	v_add_u32_e32 v20, s60, v20                                // 000000002EDC: 6828283C
	v_lshlrev_b32_e32 v20, 2, v20                              // 000000002EE0: 24282882
	v_and_b32_e32 v4, 31, v0                                   // 000000002EE4: 2608009F
	v_lshrrev_b32_e32 v4, 1, v4                                // 000000002EE8: 20080881
	v_mul_lo_u32 v21, 34, v4                                   // 000000002EEC: D2850015 000208A2
	v_lshrrev_b32_e32 v4, 5, v0                                // 000000002EF4: 20080085
	v_mul_lo_u32 v4, 8, v4                                     // 000000002EF8: D2850004 00020888
	v_add_u32_e32 v21, v21, v4                                 // 000000002F00: 682A0915
	v_and_b32_e32 v5, 1, v0                                    // 000000002F04: 260A0081
	v_add_u32_e32 v21, v5, v21                                 // 000000002F08: 682A2B05
	s_mul_i32 s60, s7, 2                                       // 000000002F0C: 923C8207
	v_add_u32_e32 v21, s60, v21                                // 000000002F10: 682A2A3C
	v_lshlrev_b32_e32 v21, 2, v21                              // 000000002F14: 242A2A82
	s_mul_i32 s60, s7, 0x820                                   // 000000002F18: 923CFF07 00000820
	s_add_u32 s48, 0, s60                                      // 000000002F20: 80303C80
	s_add_u32 s49, 0x2080, s48                                 // 000000002F24: 803130FF 00002080
	v_lshrrev_b32_e32 v4, 4, v0                                // 000000002F2C: 20080084
	v_lshlrev_b32_e32 v5, 2, v4                                // 000000002F30: 240A0882
	v_and_b32_e32 v4, 15, v0                                   // 000000002F34: 2608008F
	v_lshrrev_b32_e32 v6, 2, v4                                // 000000002F38: 200C0882
	v_lshlrev_b32_e32 v6, 5, v6                                // 000000002F3C: 240C0C85
	v_add_u32_e32 v5, v6, v5                                   // 000000002F40: 680A0B06
	v_and_b32_e32 v4, 3, v0                                    // 000000002F44: 26080083
	v_mul_u32_u24_e32 v6, 0x208, v4                            // 000000002F48: 100C08FF 00000208
	v_add_u32_e32 v5, v6, v5                                   // 000000002F50: 680A0B06
	v_lshlrev_b32_e32 v2, 2, v5                                // 000000002F54: 24040A82
	s_waitcnt lgkmcnt(0)                                       // 000000002F58: BF8CC07F
	s_mul_i32 s60, s2, 0x100                                   // 000000002F5C: 923CFF02 00000100
	s_mul_i32 s60, s60, s69                                    // 000000002F64: 923C453C
	s_mul_i32 s61, s5, s72                                     // 000000002F68: 923D4805
	s_add_u32 s60, s61, s60                                    // 000000002F6C: 803C3C3D
	s_add_u32 s24, s60, s24                                    // 000000002F70: 8018183C
	s_addc_u32 s25, 0, s25                                     // 000000002F74: 82191980
	s_lshr_b32 s60, s64, s88                                   // 000000002F78: 8F3C5840
	s_mul_i32 s60, s4, s60                                     // 000000002F7C: 923C3C04
	s_lshr_b32 s60, s60, 7                                     // 000000002F80: 8F3C873C
	s_mul_i32 s60, s60, 0x800                                  // 000000002F84: 923CFF3C 00000800
	s_add_u32 s24, s60, s24                                    // 000000002F8C: 8018183C
	s_addc_u32 s25, 0, s25                                     // 000000002F90: 82191980
	s_lshr_b32 s60, s69, s88                                   // 000000002F94: 8F3C5845
	s_mul_i32 s60, s4, s60                                     // 000000002F98: 923C3C04
	s_add_u32 s20, s60, s20                                    // 000000002F9C: 8014143C
	s_addc_u32 s21, 0, s21                                     // 000000002FA0: 82151580
	s_mul_i32 s60, s7, 16                                      // 000000002FA4: 923C9007
	s_mul_i32 s60, s60, s69                                    // 000000002FA8: 923C453C
	v_lshlrev_b32_e32 v52, 4, v0                               // 000000002FAC: 24680084
	v_add_u32_e32 v52, s60, v52                                // 000000002FB0: 6868683C
	s_mul_i32 s60, 64, s69                                     // 000000002FB4: 923C45C0
	v_add_u32_e32 v53, s60, v52                                // 000000002FB8: 686A683C
	v_add_u32_e32 v54, s60, v53                                // 000000002FBC: 686C6A3C
	v_add_u32_e32 v55, s60, v54                                // 000000002FC0: 686E6C3C
	s_mov_b32 s84, s24                                         // 000000002FC4: BED40018
	s_mov_b32 s85, s25                                         // 000000002FC8: BED50019
	s_mov_b32 s86, s26                                         // 000000002FCC: BED6001A
	s_mov_b32 s87, s27                                         // 000000002FD0: BED7001B
	s_mul_i32 s60, s69, s65                                    // 000000002FD4: 923C4145
	s_add_u32 s84, s60, s84                                    // 000000002FD8: 8054543C
	s_addc_u32 s85, 0, s85                                     // 000000002FDC: 82555580
	v_lshrrev_b32_e32 v4, 4, v0                                // 000000002FE0: 20080084
	v_lshlrev_b32_e32 v5, 2, v4                                // 000000002FE4: 240A0882
	v_and_b32_e32 v4, 15, v0                                   // 000000002FE8: 2608008F
	v_lshrrev_b32_e32 v6, 2, v4                                // 000000002FEC: 200C0882
	v_lshlrev_b32_e32 v6, 6, v6                                // 000000002FF0: 240C0C86
	v_add_u32_e32 v5, v6, v5                                   // 000000002FF4: 680A0B06
	v_and_b32_e32 v4, 3, v0                                    // 000000002FF8: 26080083
	v_add_u32_e32 v5, v4, v5                                   // 000000002FFC: 680A0B04
	v_lshlrev_b32_e32 v22, 2, v5                               // 000000003000: 242C0A82
	s_mul_i32 s60, s7, 16                                      // 000000003004: 923C9007
	s_mul_i32 s60, s60, 4                                      // 000000003008: 923C843C
	v_add_u32_e32 v22, s60, v22                                // 00000000300C: 682C2C3C
	s_mul_i32 s60, s2, 0x100                                   // 000000003010: 923CFF02 00000100
	s_mul_i32 s60, s60, 4                                      // 000000003018: 923C843C
	s_mul_i32 s61, s5, s74                                     // 00000000301C: 923D4A05
	s_add_u32 s61, s61, s60                                    // 000000003020: 803D3C3D
	s_add_u32 s32, s61, s32                                    // 000000003024: 8020203D
	s_addc_u32 s33, 0, s33                                     // 000000003028: 82212180
	s_mov_b32 s57, 0x80                                        // 00000000302C: BEB900FF 00000080
	s_mov_b32 s58, 0x800                                       // 000000003034: BEBA00FF 00000800
	s_mov_b32 s83, s58                                         // 00000000303C: BED3003A
	s_mov_b32 s52, 0x7060302                                   // 000000003040: BEB400FF 07060302
	s_mov_b32 s53, 0x400                                       // 000000003048: BEB500FF 00000400
	s_mov_b32 s54, 0x40100                                     // 000000003050: BEB600FF 00040100
	s_mov_b32 s55, 0x4020100                                   // 000000003058: BEB700FF 04020100
	s_mov_b32 s6, 0x3fb8aa3b                                   // 000000003060: BE8600FF 3FB8AA3B
	s_mov_b32 s78, 0xbd92220c                                  // 000000003068: BECE00FF BD92220C
	s_mov_b32 s79, 0xbd92220c                                  // 000000003070: BECF00FF BD92220C
	s_mov_b32 m0, s48                                          // 000000003078: BEFC0030
	v_mov_b32_e32 v1, 0xbfcc4231                               // 00000000307C: 7E0202FF BFCC4231
	v_mov_b32_e32 v17, 0xffff0000                              // 000000003084: 7E2202FF FFFF0000
	v_mov_b32_e32 v18, 0x7fff0000                              // 00000000308C: 7E2402FF 7FFF0000
	v_mov_b32_e32 v19, 0x7fff                                  // 000000003094: 7E2602FF 00007FFF
	s_waitcnt vmcnt(0) expcnt(0) lgkmcnt(0)                    // 00000000309C: BF8C0000
	s_mul_i32 s60, s3, 64                                      // 0000000030A0: 923CC003
	s_mul_i32 s60, 4, s60                                      // 0000000030A4: 923C3C84
	s_add_u32 s40, s60, s40                                    // 0000000030A8: 8028283C
	s_addc_u32 s41, 0, s41                                     // 0000000030AC: 82292980
	v_and_b32_e32 v4, 15, v0                                   // 0000000030B0: 2608008F
	v_lshlrev_b32_e32 v4, 2, v4                                // 0000000030B4: 24080882
	buffer_load_dword v184, v4, s[40:43], 0 offen              // 0000000030B8: E0501000 800AB804
	buffer_load_dword v185, v4, s[40:43], 0 offen offset:64    // 0000000030C0: E0501040 800AB904
	buffer_load_dword v186, v4, s[40:43], 0 offen offset:128   // 0000000030C8: E0501080 800ABA04
	buffer_load_dword v187, v4, s[40:43], 0 offen offset:192   // 0000000030D0: E05010C0 800ABB04
	v_lshrrev_b32_e32 v4, 5, v0                                // 0000000030D8: 20080085
	v_xor_b32_e32 v5, 1, v4                                    // 0000000030DC: 2A0A0881
	v_readlane_b32 s82, v3, 0                                  // 0000000030E0: D2890052 00010103
	s_and_b32 s82, s82, 0xffffff                               // 0000000030E8: 8652FF52 00FFFFFF
	v_mul_lo_u32 v6, v5, s82                                   // 0000000030F0: D2850006 0000A505
	v_readlane_b32 s82, v3, 1                                  // 0000000030F8: D2890052 00010303
	s_and_b32 s82, s82, 0xffffff                               // 000000003100: 8652FF52 00FFFFFF
	v_mul_lo_u32 v7, v4, s82                                   // 000000003108: D2850007 0000A504
	v_add_u32_e32 v44, v6, v7                                  // 000000003110: 68580F06
	v_mul_lo_u32 v44, v44, s68                                 // 000000003114: D285002C 0000892C
	v_readlane_b32 s82, v3, 2                                  // 00000000311C: D2890052 00010503
	s_and_b32 s82, s82, 0xffffff                               // 000000003124: 8652FF52 00FFFFFF
	v_mul_lo_u32 v6, v5, s82                                   // 00000000312C: D2850006 0000A505
	v_readlane_b32 s82, v3, 3                                  // 000000003134: D2890052 00010703
	s_and_b32 s82, s82, 0xffffff                               // 00000000313C: 8652FF52 00FFFFFF
	v_mul_lo_u32 v7, v4, s82                                   // 000000003144: D2850007 0000A504
	v_add_u32_e32 v45, v6, v7                                  // 00000000314C: 685A0F06
	v_mul_lo_u32 v45, v45, s68                                 // 000000003150: D285002D 0000892D
	v_readlane_b32 s82, v3, 4                                  // 000000003158: D2890052 00010903
	s_and_b32 s82, s82, 0xffffff                               // 000000003160: 8652FF52 00FFFFFF
	v_mul_lo_u32 v6, v5, s82                                   // 000000003168: D2850006 0000A505
	v_readlane_b32 s82, v3, 5                                  // 000000003170: D2890052 00010B03
	s_and_b32 s82, s82, 0xffffff                               // 000000003178: 8652FF52 00FFFFFF
	v_mul_lo_u32 v7, v4, s82                                   // 000000003180: D2850007 0000A504
	v_add_u32_e32 v46, v6, v7                                  // 000000003188: 685C0F06
	v_mul_lo_u32 v46, v46, s68                                 // 00000000318C: D285002E 0000892E
	v_readlane_b32 s82, v3, 6                                  // 000000003194: D2890052 00010D03
	s_and_b32 s82, s82, 0xffffff                               // 00000000319C: 8652FF52 00FFFFFF
	v_mul_lo_u32 v6, v5, s82                                   // 0000000031A4: D2850006 0000A505
	v_readlane_b32 s82, v3, 7                                  // 0000000031AC: D2890052 00010F03
	s_and_b32 s82, s82, 0xffffff                               // 0000000031B4: 8652FF52 00FFFFFF
	v_mul_lo_u32 v7, v4, s82                                   // 0000000031BC: D2850007 0000A504
	v_add_u32_e32 v47, v6, v7                                  // 0000000031C4: 685E0F06
	v_mul_lo_u32 v47, v47, s68                                 // 0000000031C8: D285002F 0000892F
	v_readlane_b32 s82, v3, 8                                  // 0000000031D0: D2890052 00011103
	s_and_b32 s82, s82, 0xffffff                               // 0000000031D8: 8652FF52 00FFFFFF
	v_mul_lo_u32 v6, v5, s82                                   // 0000000031E0: D2850006 0000A505
	v_readlane_b32 s82, v3, 9                                  // 0000000031E8: D2890052 00011303
	s_and_b32 s82, s82, 0xffffff                               // 0000000031F0: 8652FF52 00FFFFFF
	v_mul_lo_u32 v7, v4, s82                                   // 0000000031F8: D2850007 0000A504
	v_add_u32_e32 v48, v6, v7                                  // 000000003200: 68600F06
	v_mul_lo_u32 v48, v48, s68                                 // 000000003204: D2850030 00008930
	v_readlane_b32 s82, v3, 10                                 // 00000000320C: D2890052 00011503
	s_and_b32 s82, s82, 0xffffff                               // 000000003214: 8652FF52 00FFFFFF
	v_mul_lo_u32 v6, v5, s82                                   // 00000000321C: D2850006 0000A505
	v_readlane_b32 s82, v3, 11                                 // 000000003224: D2890052 00011703
	s_and_b32 s82, s82, 0xffffff                               // 00000000322C: 8652FF52 00FFFFFF
	v_mul_lo_u32 v7, v4, s82                                   // 000000003234: D2850007 0000A504
	v_add_u32_e32 v49, v6, v7                                  // 00000000323C: 68620F06
	v_mul_lo_u32 v49, v49, s68                                 // 000000003240: D2850031 00008931
	v_readlane_b32 s82, v3, 12                                 // 000000003248: D2890052 00011903
	s_and_b32 s82, s82, 0xffffff                               // 000000003250: 8652FF52 00FFFFFF
	v_mul_lo_u32 v6, v5, s82                                   // 000000003258: D2850006 0000A505
	v_readlane_b32 s82, v3, 13                                 // 000000003260: D2890052 00011B03
	s_and_b32 s82, s82, 0xffffff                               // 000000003268: 8652FF52 00FFFFFF
	v_mul_lo_u32 v7, v4, s82                                   // 000000003270: D2850007 0000A504
	v_add_u32_e32 v50, v6, v7                                  // 000000003278: 68640F06
	v_mul_lo_u32 v50, v50, s68                                 // 00000000327C: D2850032 00008932
	v_readlane_b32 s82, v3, 14                                 // 000000003284: D2890052 00011D03
	s_and_b32 s82, s82, 0xffffff                               // 00000000328C: 8652FF52 00FFFFFF
	v_mul_lo_u32 v6, v5, s82                                   // 000000003294: D2850006 0000A505
	v_readlane_b32 s82, v3, 15                                 // 00000000329C: D2890052 00011F03
	s_and_b32 s82, s82, 0xffffff                               // 0000000032A4: 8652FF52 00FFFFFF
	v_mul_lo_u32 v7, v4, s82                                   // 0000000032AC: D2850007 0000A504
	v_add_u32_e32 v51, v6, v7                                  // 0000000032B4: 68660F06
	v_mul_lo_u32 v51, v51, s68                                 // 0000000032B8: D2850033 00008933
	v_and_b32_e32 v4, 31, v0                                   // 0000000032C0: 2608009F
	v_lshlrev_b32_e32 v4, 2, v4                                // 0000000032C4: 24080882
	v_add_u32_e32 v44, v44, v4                                 // 0000000032C8: 6858092C
	v_add_u32_e32 v45, v45, v4                                 // 0000000032CC: 685A092D
	v_add_u32_e32 v46, v46, v4                                 // 0000000032D0: 685C092E
	v_add_u32_e32 v47, v47, v4                                 // 0000000032D4: 685E092F
	v_add_u32_e32 v48, v48, v4                                 // 0000000032D8: 68600930
	v_add_u32_e32 v49, v49, v4                                 // 0000000032DC: 68620931
	v_add_u32_e32 v50, v50, v4                                 // 0000000032E0: 68640932
	v_add_u32_e32 v51, v51, v4                                 // 0000000032E4: 68660933
	v_and_b32_e32 v28, 0xffffff, v28                           // 0000000032E8: 263838FF 00FFFFFF
	v_lshlrev_b32_e32 v28, 2, v28                              // 0000000032F0: 24383882
	v_and_b32_e32 v29, 0xffffff, v29                           // 0000000032F4: 263A3AFF 00FFFFFF
	v_lshlrev_b32_e32 v29, 2, v29                              // 0000000032FC: 243A3A82
	v_and_b32_e32 v30, 0xffffff, v30                           // 000000003300: 263C3CFF 00FFFFFF
	v_lshlrev_b32_e32 v30, 2, v30                              // 000000003308: 243C3C82
	v_and_b32_e32 v31, 0xffffff, v31                           // 00000000330C: 263E3EFF 00FFFFFF
	v_lshlrev_b32_e32 v31, 2, v31                              // 000000003314: 243E3E82
	s_lshl_b32 s3, s66, 2                                      // 000000003318: 8E038242
	buffer_load_dword v32, v28, s[28:31], 0 offen              // 00000000331C: E0501000 8007201C
	buffer_load_dword v33, v29, s[28:31], 0 offen              // 000000003324: E0501000 8007211D
	buffer_load_dword v34, v30, s[28:31], 0 offen              // 00000000332C: E0501000 8007221E
	buffer_load_dword v35, v31, s[28:31], 0 offen              // 000000003334: E0501000 8007231F
	buffer_load_dword v24, v22, s[32:35], 0 offen              // 00000000333C: E0501000 80081816
	s_mul_i32 s60, 4, s65                                      // 000000003344: 923C4184
	s_add_u32 s32, s60, s32                                    // 000000003348: 8020203C
	s_addc_u32 s33, 0, s33                                     // 00000000334C: 82212180
	buffer_load_dword v26, v22, s[32:35], 0 offen              // 000000003350: E0501000 80081A16
	buffer_load_dword v44, s[20:23], 0 offen lds               // 000000003358: E0511000 8005002C
	s_add_u32 m0, 0x100, s48                                   // 000000003360: 807C30FF 00000100
	buffer_load_dword v45, s[20:23], 0 offen lds               // 000000003368: E0511000 8005002D
	s_add_u32 m0, 0x200, s48                                   // 000000003370: 807C30FF 00000200
	buffer_load_dword v46, s[20:23], 0 offen lds               // 000000003378: E0511000 8005002E
	s_add_u32 m0, 0x300, s48                                   // 000000003380: 807C30FF 00000300
	buffer_load_dword v47, s[20:23], 0 offen lds               // 000000003388: E0511000 8005002F
	s_add_u32 m0, 0x400, s48                                   // 000000003390: 807C30FF 00000400
	buffer_load_dword v48, s[20:23], 0 offen lds               // 000000003398: E0511000 80050030
	s_add_u32 m0, 0x500, s48                                   // 0000000033A0: 807C30FF 00000500
	buffer_load_dword v49, s[20:23], 0 offen lds               // 0000000033A8: E0511000 80050031
	s_add_u32 m0, 0x600, s48                                   // 0000000033B0: 807C30FF 00000600
	buffer_load_dword v50, s[20:23], 0 offen lds               // 0000000033B8: E0511000 80050032
	s_add_u32 m0, 0x700, s48                                   // 0000000033C0: 807C30FF 00000700
	buffer_load_dword v51, s[20:23], 0 offen lds               // 0000000033C8: E0511000 80050033
	s_add_u32 m0, 0, s49                                       // 0000000033D0: 807C3180
	s_add_u32 s20, s57, s20                                    // 0000000033D4: 80141439
	s_addc_u32 s21, 0, s21                                     // 0000000033D8: 82151580
	buffer_load_dword v44, s[20:23], 0 offen lds               // 0000000033DC: E0511000 8005002C
	s_add_u32 m0, 0x100, s49                                   // 0000000033E4: 807C31FF 00000100
	buffer_load_dword v45, s[20:23], 0 offen lds               // 0000000033EC: E0511000 8005002D
	s_add_u32 m0, 0x200, s49                                   // 0000000033F4: 807C31FF 00000200
	buffer_load_dword v46, s[20:23], 0 offen lds               // 0000000033FC: E0511000 8005002E
	s_add_u32 m0, 0x300, s49                                   // 000000003404: 807C31FF 00000300
	buffer_load_dword v47, s[20:23], 0 offen lds               // 00000000340C: E0511000 8005002F
	s_add_u32 m0, 0x400, s49                                   // 000000003414: 807C31FF 00000400
	buffer_load_dword v48, s[20:23], 0 offen lds               // 00000000341C: E0511000 80050030
	s_add_u32 m0, 0x500, s49                                   // 000000003424: 807C31FF 00000500
	buffer_load_dword v49, s[20:23], 0 offen lds               // 00000000342C: E0511000 80050031
	s_add_u32 m0, 0x600, s49                                   // 000000003434: 807C31FF 00000600
	buffer_load_dword v50, s[20:23], 0 offen lds               // 00000000343C: E0511000 80050032
	s_add_u32 m0, 0x700, s49                                   // 000000003444: 807C31FF 00000700
	buffer_load_dword v51, s[20:23], 0 offen lds               // 00000000344C: E0511000 80050033
	s_add_u32 m0, 0, s48                                       // 000000003454: 807C3080
	s_add_u32 s20, s57, s20                                    // 000000003458: 80141439
	s_addc_u32 s21, 0, s21                                     // 00000000345C: 82151580
	buffer_load_dwordx4 a[64:67], v52, s[24:27], 0 offen       // 000000003460: E05C1000 80864034
	buffer_load_dwordx4 a[68:71], v52, s[24:27], 0 offen offset:1024// 000000003468: E05C1400 80864434
	buffer_load_dwordx4 a[72:75], v53, s[24:27], 0 offen       // 000000003470: E05C1000 80864835
	buffer_load_dwordx4 a[76:79], v53, s[24:27], 0 offen offset:1024// 000000003478: E05C1400 80864C35
	buffer_load_dwordx4 a[80:83], v54, s[24:27], 0 offen       // 000000003480: E05C1000 80865036
	buffer_load_dwordx4 a[84:87], v54, s[24:27], 0 offen offset:1024// 000000003488: E05C1400 80865436
	buffer_load_dwordx4 a[88:91], v55, s[24:27], 0 offen       // 000000003490: E05C1000 80865837
	buffer_load_dwordx4 a[92:95], v55, s[24:27], 0 offen offset:1024// 000000003498: E05C1400 80865C37
	s_add_u32 s24, s58, s24                                    // 0000000034A0: 8018183A
	s_addc_u32 s25, 0, s25                                     // 0000000034A4: 82191980
	s_waitcnt vmcnt(16)                                        // 0000000034A8: BF8C4F70
	s_barrier                                                  // 0000000034AC: BF8A0000
	ds_read_b128 a[0:3], v2                                    // 0000000034B0: DBFE0000 00000002
	ds_read_b128 a[4:7], v2 offset:64                          // 0000000034B8: DBFE0040 04000002
	ds_read_b128 a[8:11], v2 offset:512                        // 0000000034C0: DBFE0200 08000002
	ds_read_b128 a[12:15], v2 offset:576                       // 0000000034C8: DBFE0240 0C000002
	ds_read_b128 a[16:19], v2 offset:1024                      // 0000000034D0: DBFE0400 10000002
	ds_read_b128 a[20:23], v2 offset:1088                      // 0000000034D8: DBFE0440 14000002
	ds_read_b128 a[24:27], v2 offset:1536                      // 0000000034E0: DBFE0600 18000002
	ds_read_b128 a[28:31], v2 offset:1600                      // 0000000034E8: DBFE0640 1C000002
	s_cmp_lt_i32 s7, 2                                         // 0000000034F0: BF048207
	s_cbranch_scc0 label_14AF                                  // 0000000034F4: BF8411EE

00000000000034f8 <label_02BE>:
	s_waitcnt vmcnt(6) lgkmcnt(0)                              // 0000000034F8: BF8C0076
	s_barrier                                                  // 0000000034FC: BF8A0000
	v_mfma_f32_16x16x32_fp8_fp8 v[56:59], a[64:65], a[0:1], v[56:59]// 000000003500: D3F30038 1CE20140
	v_mfma_f32_16x16x32_fp8_fp8 v[56:59], a[66:67], a[2:3], v[56:59]// 000000003508: D3F30038 1CE20542
	buffer_load_dwordx4 a[96:99], v52, s[84:87], 0 offen       // 000000003510: E05C1000 80956034
	v_mfma_f32_16x16x32_fp8_fp8 v[56:59], a[68:69], a[4:5], v[56:59]// 000000003518: D3F30038 1CE20944
	v_mfma_f32_16x16x32_fp8_fp8 v[56:59], a[70:71], a[6:7], v[56:59]// 000000003520: D3F30038 1CE20D46
	v_mfma_f32_16x16x32_fp8_fp8 v[60:63], a[64:65], a[8:9], v[60:63]// 000000003528: D3F3003C 1CF21140
	v_mfma_f32_16x16x32_fp8_fp8 v[60:63], a[66:67], a[10:11], v[60:63]// 000000003530: D3F3003C 1CF21542
	buffer_load_dwordx4 a[100:103], v52, s[84:87], 0 offen offset:1024// 000000003538: E05C1400 80956434
	v_mfma_f32_16x16x32_fp8_fp8 v[60:63], a[68:69], a[12:13], v[60:63]// 000000003540: D3F3003C 1CF21944
	v_mfma_f32_16x16x32_fp8_fp8 v[60:63], a[70:71], a[14:15], v[60:63]// 000000003548: D3F3003C 1CF21D46
	v_mfma_f32_16x16x32_fp8_fp8 v[64:67], a[64:65], a[16:17], v[64:67]// 000000003550: D3F30040 1D022140
	v_mfma_f32_16x16x32_fp8_fp8 v[64:67], a[66:67], a[18:19], v[64:67]// 000000003558: D3F30040 1D022542
	buffer_load_dwordx4 a[104:107], v53, s[84:87], 0 offen     // 000000003560: E05C1000 80956835
	v_mfma_f32_16x16x32_fp8_fp8 v[64:67], a[68:69], a[20:21], v[64:67]// 000000003568: D3F30040 1D022944
	v_mfma_f32_16x16x32_fp8_fp8 v[64:67], a[70:71], a[22:23], v[64:67]// 000000003570: D3F30040 1D022D46
	v_mfma_f32_16x16x32_fp8_fp8 v[68:71], a[64:65], a[24:25], v[68:71]// 000000003578: D3F30044 1D123140
	v_mfma_f32_16x16x32_fp8_fp8 v[68:71], a[66:67], a[26:27], v[68:71]// 000000003580: D3F30044 1D123542
	buffer_load_dwordx4 a[108:111], v53, s[84:87], 0 offen offset:1024// 000000003588: E05C1400 80956C35
	v_mfma_f32_16x16x32_fp8_fp8 v[68:71], a[68:69], a[28:29], v[68:71]// 000000003590: D3F30044 1D123944
	v_mfma_f32_16x16x32_fp8_fp8 v[68:71], a[70:71], a[30:31], v[68:71]// 000000003598: D3F30044 1D123D46
	s_waitcnt vmcnt(8)                                         // 0000000035A0: BF8C0F78
	v_mfma_f32_16x16x32_fp8_fp8 v[72:75], a[72:73], a[0:1], v[72:75]// 0000000035A4: D3F30048 1D220148
	v_mfma_f32_16x16x32_fp8_fp8 v[72:75], a[74:75], a[2:3], v[72:75]// 0000000035AC: D3F30048 1D22054A
	buffer_load_dwordx4 a[112:115], v54, s[84:87], 0 offen     // 0000000035B4: E05C1000 80957036
	v_mfma_f32_16x16x32_fp8_fp8 v[72:75], a[76:77], a[4:5], v[72:75]// 0000000035BC: D3F30048 1D22094C
	v_mfma_f32_16x16x32_fp8_fp8 v[72:75], a[78:79], a[6:7], v[72:75]// 0000000035C4: D3F30048 1D220D4E
	v_mfma_f32_16x16x32_fp8_fp8 v[76:79], a[72:73], a[8:9], v[76:79]// 0000000035CC: D3F3004C 1D321148
	v_mfma_f32_16x16x32_fp8_fp8 v[76:79], a[74:75], a[10:11], v[76:79]// 0000000035D4: D3F3004C 1D32154A
	buffer_load_dwordx4 a[116:119], v54, s[84:87], 0 offen offset:1024// 0000000035DC: E05C1400 80957436
	v_mfma_f32_16x16x32_fp8_fp8 v[76:79], a[76:77], a[12:13], v[76:79]// 0000000035E4: D3F3004C 1D32194C
	v_mfma_f32_16x16x32_fp8_fp8 v[76:79], a[78:79], a[14:15], v[76:79]// 0000000035EC: D3F3004C 1D321D4E
	v_mfma_f32_16x16x32_fp8_fp8 v[80:83], a[72:73], a[16:17], v[80:83]// 0000000035F4: D3F30050 1D422148
	v_mfma_f32_16x16x32_fp8_fp8 v[80:83], a[74:75], a[18:19], v[80:83]// 0000000035FC: D3F30050 1D42254A
	buffer_load_dwordx4 a[120:123], v55, s[84:87], 0 offen     // 000000003604: E05C1000 80957837
	v_mfma_f32_16x16x32_fp8_fp8 v[80:83], a[76:77], a[20:21], v[80:83]// 00000000360C: D3F30050 1D42294C
	v_mfma_f32_16x16x32_fp8_fp8 v[80:83], a[78:79], a[22:23], v[80:83]// 000000003614: D3F30050 1D422D4E
	v_mfma_f32_16x16x32_fp8_fp8 v[84:87], a[72:73], a[24:25], v[84:87]// 00000000361C: D3F30054 1D523148
	v_mfma_f32_16x16x32_fp8_fp8 v[84:87], a[74:75], a[26:27], v[84:87]// 000000003624: D3F30054 1D52354A
	buffer_load_dwordx4 a[124:127], v55, s[84:87], 0 offen offset:1024// 00000000362C: E05C1400 80957C37
	buffer_load_dword v44, s[20:23], 0 offen lds               // 000000003634: E0511000 8005002C
	s_add_u32 m0, 0x100, s48                                   // 00000000363C: 807C30FF 00000100
	v_mfma_f32_16x16x32_fp8_fp8 v[84:87], a[76:77], a[28:29], v[84:87]// 000000003644: D3F30054 1D52394C
	v_mfma_f32_16x16x32_fp8_fp8 v[84:87], a[78:79], a[30:31], v[84:87]// 00000000364C: D3F30054 1D523D4E
	buffer_load_dword v45, s[20:23], 0 offen lds               // 000000003654: E0511000 8005002D
	s_add_u32 m0, 0x200, s48                                   // 00000000365C: 807C30FF 00000200
	s_waitcnt vmcnt(12)                                        // 000000003664: BF8C0F7C
	v_mfma_f32_16x16x32_fp8_fp8 v[88:91], a[80:81], a[0:1], v[88:91]// 000000003668: D3F30058 1D620150
	v_mfma_f32_16x16x32_fp8_fp8 v[88:91], a[82:83], a[2:3], v[88:91]// 000000003670: D3F30058 1D620552
	buffer_load_dword v46, s[20:23], 0 offen lds               // 000000003678: E0511000 8005002E
	s_add_u32 m0, 0x300, s48                                   // 000000003680: 807C30FF 00000300
	v_mfma_f32_16x16x32_fp8_fp8 v[88:91], a[84:85], a[4:5], v[88:91]// 000000003688: D3F30058 1D620954
	v_mfma_f32_16x16x32_fp8_fp8 v[88:91], a[86:87], a[6:7], v[88:91]// 000000003690: D3F30058 1D620D56
	buffer_load_dword v47, s[20:23], 0 offen lds               // 000000003698: E0511000 8005002F
	s_add_u32 m0, 0x400, s48                                   // 0000000036A0: 807C30FF 00000400
	v_mfma_f32_16x16x32_fp8_fp8 v[92:95], a[80:81], a[8:9], v[92:95]// 0000000036A8: D3F3005C 1D721150
	v_mfma_f32_16x16x32_fp8_fp8 v[92:95], a[82:83], a[10:11], v[92:95]// 0000000036B0: D3F3005C 1D721552
	buffer_load_dword v48, s[20:23], 0 offen lds               // 0000000036B8: E0511000 80050030
	s_add_u32 m0, 0x500, s48                                   // 0000000036C0: 807C30FF 00000500
	v_mfma_f32_16x16x32_fp8_fp8 v[92:95], a[84:85], a[12:13], v[92:95]// 0000000036C8: D3F3005C 1D721954
	v_mfma_f32_16x16x32_fp8_fp8 v[92:95], a[86:87], a[14:15], v[92:95]// 0000000036D0: D3F3005C 1D721D56
	buffer_load_dword v49, s[20:23], 0 offen lds               // 0000000036D8: E0511000 80050031
	s_add_u32 m0, 0x600, s48                                   // 0000000036E0: 807C30FF 00000600
	v_mfma_f32_16x16x32_fp8_fp8 v[96:99], a[80:81], a[16:17], v[96:99]// 0000000036E8: D3F30060 1D822150
	v_mfma_f32_16x16x32_fp8_fp8 v[96:99], a[82:83], a[18:19], v[96:99]// 0000000036F0: D3F30060 1D822552
	buffer_load_dword v50, s[20:23], 0 offen lds               // 0000000036F8: E0511000 80050032
	s_add_u32 m0, 0x700, s48                                   // 000000003700: 807C30FF 00000700
	v_mfma_f32_16x16x32_fp8_fp8 v[96:99], a[84:85], a[20:21], v[96:99]// 000000003708: D3F30060 1D822954
	v_mfma_f32_16x16x32_fp8_fp8 v[96:99], a[86:87], a[22:23], v[96:99]// 000000003710: D3F30060 1D822D56
	buffer_load_dword v51, s[20:23], 0 offen lds               // 000000003718: E0511000 80050033
	s_add_u32 m0, 0, s49                                       // 000000003720: 807C3180
	v_mfma_f32_16x16x32_fp8_fp8 v[100:103], a[80:81], a[24:25], v[100:103]// 000000003724: D3F30064 1D923150
	v_mfma_f32_16x16x32_fp8_fp8 v[100:103], a[82:83], a[26:27], v[100:103]// 00000000372C: D3F30064 1D923552
	v_mfma_f32_16x16x32_fp8_fp8 v[100:103], a[84:85], a[28:29], v[100:103]// 000000003734: D3F30064 1D923954
	v_mfma_f32_16x16x32_fp8_fp8 v[100:103], a[86:87], a[30:31], v[100:103]// 00000000373C: D3F30064 1D923D56
	s_waitcnt vmcnt(16)                                        // 000000003744: BF8C4F70
	v_mfma_f32_16x16x32_fp8_fp8 v[104:107], a[88:89], a[0:1], v[104:107]// 000000003748: D3F30068 1DA20158
	v_mfma_f32_16x16x32_fp8_fp8 v[104:107], a[90:91], a[2:3], v[104:107]// 000000003750: D3F30068 1DA2055A
	v_mfma_f32_16x16x32_fp8_fp8 v[104:107], a[92:93], a[4:5], v[104:107]// 000000003758: D3F30068 1DA2095C
	v_mfma_f32_16x16x32_fp8_fp8 v[104:107], a[94:95], a[6:7], v[104:107]// 000000003760: D3F30068 1DA20D5E
	v_mfma_f32_16x16x32_fp8_fp8 v[108:111], a[88:89], a[8:9], v[108:111]// 000000003768: D3F3006C 1DB21158
	v_mfma_f32_16x16x32_fp8_fp8 v[108:111], a[90:91], a[10:11], v[108:111]// 000000003770: D3F3006C 1DB2155A
	v_mfma_f32_16x16x32_fp8_fp8 v[108:111], a[92:93], a[12:13], v[108:111]// 000000003778: D3F3006C 1DB2195C
	v_mfma_f32_16x16x32_fp8_fp8 v[108:111], a[94:95], a[14:15], v[108:111]// 000000003780: D3F3006C 1DB21D5E
	v_mfma_f32_16x16x32_fp8_fp8 v[112:115], a[88:89], a[16:17], v[112:115]// 000000003788: D3F30070 1DC22158
	v_mfma_f32_16x16x32_fp8_fp8 v[112:115], a[90:91], a[18:19], v[112:115]// 000000003790: D3F30070 1DC2255A
	v_mfma_f32_16x16x32_fp8_fp8 v[112:115], a[92:93], a[20:21], v[112:115]// 000000003798: D3F30070 1DC2295C
	v_mfma_f32_16x16x32_fp8_fp8 v[112:115], a[94:95], a[22:23], v[112:115]// 0000000037A0: D3F30070 1DC22D5E
	v_mfma_f32_16x16x32_fp8_fp8 v[116:119], a[88:89], a[24:25], v[116:119]// 0000000037A8: D3F30074 1DD23158
	v_mfma_f32_16x16x32_fp8_fp8 v[116:119], a[90:91], a[26:27], v[116:119]// 0000000037B0: D3F30074 1DD2355A
	s_add_u32 s60, 0x80, s80                                   // 0000000037B8: 803C50FF 00000080
	s_cmp_lt_u32 s60, s81                                      // 0000000037C0: BF0A513C
	s_cselect_b32 s83, s83, 0                                  // 0000000037C4: 85538053
	v_mfma_f32_16x16x32_fp8_fp8 v[116:119], a[92:93], a[28:29], v[116:119]// 0000000037C8: D3F30074 1DD2395C
	v_mfma_f32_16x16x32_fp8_fp8 v[116:119], a[94:95], a[30:31], v[116:119]// 0000000037D0: D3F30074 1DD23D5E
	s_waitcnt vmcnt(8)                                         // 0000000037D8: BF8C0F78
	v_mfma_f32_16x16x32_fp8_fp8 v[120:123], a[96:97], a[0:1], v[120:123]// 0000000037DC: D3F30078 1DE20160
	v_mfma_f32_16x16x32_fp8_fp8 v[120:123], a[98:99], a[2:3], v[120:123]// 0000000037E4: D3F30078 1DE20562
	buffer_load_dwordx4 a[64:67], v52, s[24:27], 0 offen       // 0000000037EC: E05C1000 80864034
	v_mfma_f32_16x16x32_fp8_fp8 v[120:123], a[100:101], a[4:5], v[120:123]// 0000000037F4: D3F30078 1DE20964
	v_mfma_f32_16x16x32_fp8_fp8 v[120:123], a[102:103], a[6:7], v[120:123]// 0000000037FC: D3F30078 1DE20D66
	ds_read_b128 a[32:35], v2 offset:8320                      // 000000003804: DBFE2080 20000002
	ds_read_b128 a[36:39], v2 offset:8384                      // 00000000380C: DBFE20C0 24000002
	v_mfma_f32_16x16x32_fp8_fp8 v[136:139], a[104:105], a[0:1], v[136:139]// 000000003814: D3F30088 1E220168
	v_mfma_f32_16x16x32_fp8_fp8 v[136:139], a[106:107], a[2:3], v[136:139]// 00000000381C: D3F30088 1E22056A
	buffer_load_dwordx4 a[68:71], v52, s[24:27], 0 offen offset:1024// 000000003824: E05C1400 80864434
	v_mfma_f32_16x16x32_fp8_fp8 v[136:139], a[108:109], a[4:5], v[136:139]// 00000000382C: D3F30088 1E22096C
	v_mfma_f32_16x16x32_fp8_fp8 v[136:139], a[110:111], a[6:7], v[136:139]// 000000003834: D3F30088 1E220D6E
	ds_read_b128 a[40:43], v2 offset:8832                      // 00000000383C: DBFE2280 28000002
	ds_read_b128 a[44:47], v2 offset:8896                      // 000000003844: DBFE22C0 2C000002
	v_mfma_f32_16x16x32_fp8_fp8 v[152:155], a[112:113], a[0:1], v[152:155]// 00000000384C: D3F30098 1E620170
	v_mfma_f32_16x16x32_fp8_fp8 v[152:155], a[114:115], a[2:3], v[152:155]// 000000003854: D3F30098 1E620572
	buffer_load_dwordx4 a[72:75], v53, s[24:27], 0 offen       // 00000000385C: E05C1000 80864835
	v_mfma_f32_16x16x32_fp8_fp8 v[152:155], a[116:117], a[4:5], v[152:155]// 000000003864: D3F30098 1E620974
	v_mfma_f32_16x16x32_fp8_fp8 v[152:155], a[118:119], a[6:7], v[152:155]// 00000000386C: D3F30098 1E620D76
	ds_read_b128 a[48:51], v2 offset:9344                      // 000000003874: DBFE2480 30000002
	ds_read_b128 a[52:55], v2 offset:9408                      // 00000000387C: DBFE24C0 34000002
	v_mfma_f32_16x16x32_fp8_fp8 v[168:171], a[120:121], a[0:1], v[168:171]// 000000003884: D3F300A8 1EA20178
	v_mfma_f32_16x16x32_fp8_fp8 v[168:171], a[122:123], a[2:3], v[168:171]// 00000000388C: D3F300A8 1EA2057A
	buffer_load_dwordx4 a[76:79], v53, s[24:27], 0 offen offset:1024// 000000003894: E05C1400 80864C35
	v_mfma_f32_16x16x32_fp8_fp8 v[168:171], a[124:125], a[4:5], v[168:171]// 00000000389C: D3F300A8 1EA2097C
	v_mfma_f32_16x16x32_fp8_fp8 v[168:171], a[126:127], a[6:7], v[168:171]// 0000000038A4: D3F300A8 1EA20D7E
	ds_read_b128 a[56:59], v2 offset:9856                      // 0000000038AC: DBFE2680 38000002
	ds_read_b128 a[60:63], v2 offset:9920                      // 0000000038B4: DBFE26C0 3C000002
	v_mfma_f32_16x16x32_fp8_fp8 v[124:127], a[96:97], a[8:9], v[124:127]// 0000000038BC: D3F3007C 1DF21160
	v_mfma_f32_16x16x32_fp8_fp8 v[124:127], a[98:99], a[10:11], v[124:127]// 0000000038C4: D3F3007C 1DF21562
	buffer_load_dwordx4 a[80:83], v54, s[24:27], 0 offen       // 0000000038CC: E05C1000 80865036
	v_mfma_f32_16x16x32_fp8_fp8 v[124:127], a[100:101], a[12:13], v[124:127]// 0000000038D4: D3F3007C 1DF21964
	v_mfma_f32_16x16x32_fp8_fp8 v[124:127], a[102:103], a[14:15], v[124:127]// 0000000038DC: D3F3007C 1DF21D66
	v_mfma_f32_16x16x32_fp8_fp8 v[140:143], a[104:105], a[8:9], v[140:143]// 0000000038E4: D3F3008C 1E321168
	v_mfma_f32_16x16x32_fp8_fp8 v[140:143], a[106:107], a[10:11], v[140:143]// 0000000038EC: D3F3008C 1E32156A
	buffer_load_dwordx4 a[84:87], v54, s[24:27], 0 offen offset:1024// 0000000038F4: E05C1400 80865436
	v_mfma_f32_16x16x32_fp8_fp8 v[140:143], a[108:109], a[12:13], v[140:143]// 0000000038FC: D3F3008C 1E32196C
	v_mfma_f32_16x16x32_fp8_fp8 v[140:143], a[110:111], a[14:15], v[140:143]// 000000003904: D3F3008C 1E321D6E
	v_mfma_f32_16x16x32_fp8_fp8 v[156:159], a[112:113], a[8:9], v[156:159]// 00000000390C: D3F3009C 1E721170
	v_mfma_f32_16x16x32_fp8_fp8 v[156:159], a[114:115], a[10:11], v[156:159]// 000000003914: D3F3009C 1E721572
	buffer_load_dwordx4 a[88:91], v55, s[24:27], 0 offen       // 00000000391C: E05C1000 80865837
	v_mfma_f32_16x16x32_fp8_fp8 v[156:159], a[116:117], a[12:13], v[156:159]// 000000003924: D3F3009C 1E721974
	v_mfma_f32_16x16x32_fp8_fp8 v[156:159], a[118:119], a[14:15], v[156:159]// 00000000392C: D3F3009C 1E721D76
	v_mfma_f32_16x16x32_fp8_fp8 v[172:175], a[120:121], a[8:9], v[172:175]// 000000003934: D3F300AC 1EB21178
	v_mfma_f32_16x16x32_fp8_fp8 v[172:175], a[122:123], a[10:11], v[172:175]// 00000000393C: D3F300AC 1EB2157A
	buffer_load_dwordx4 a[92:95], v55, s[24:27], 0 offen offset:1024// 000000003944: E05C1400 80865C37
	v_mfma_f32_16x16x32_fp8_fp8 v[172:175], a[124:125], a[12:13], v[172:175]// 00000000394C: D3F300AC 1EB2197C
	v_mfma_f32_16x16x32_fp8_fp8 v[172:175], a[126:127], a[14:15], v[172:175]// 000000003954: D3F300AC 1EB21D7E
	v_mfma_f32_16x16x32_fp8_fp8 v[128:131], a[96:97], a[16:17], v[128:131]// 00000000395C: D3F30080 1E022160
	v_mfma_f32_16x16x32_fp8_fp8 v[128:131], a[98:99], a[18:19], v[128:131]// 000000003964: D3F30080 1E022562
	v_mfma_f32_16x16x32_fp8_fp8 v[128:131], a[100:101], a[20:21], v[128:131]// 00000000396C: D3F30080 1E022964
	v_mfma_f32_16x16x32_fp8_fp8 v[128:131], a[102:103], a[22:23], v[128:131]// 000000003974: D3F30080 1E022D66
	v_mfma_f32_16x16x32_fp8_fp8 v[144:147], a[104:105], a[16:17], v[144:147]// 00000000397C: D3F30090 1E422168
	v_mfma_f32_16x16x32_fp8_fp8 v[144:147], a[106:107], a[18:19], v[144:147]// 000000003984: D3F30090 1E42256A
	v_mfma_f32_16x16x32_fp8_fp8 v[144:147], a[108:109], a[20:21], v[144:147]// 00000000398C: D3F30090 1E42296C
	v_mfma_f32_16x16x32_fp8_fp8 v[144:147], a[110:111], a[22:23], v[144:147]// 000000003994: D3F30090 1E422D6E
	v_mfma_f32_16x16x32_fp8_fp8 v[160:163], a[112:113], a[16:17], v[160:163]// 00000000399C: D3F300A0 1E822170
	v_mfma_f32_16x16x32_fp8_fp8 v[160:163], a[114:115], a[18:19], v[160:163]// 0000000039A4: D3F300A0 1E822572
	v_mfma_f32_16x16x32_fp8_fp8 v[160:163], a[116:117], a[20:21], v[160:163]// 0000000039AC: D3F300A0 1E822974
	v_mfma_f32_16x16x32_fp8_fp8 v[160:163], a[118:119], a[22:23], v[160:163]// 0000000039B4: D3F300A0 1E822D76
	v_mfma_f32_16x16x32_fp8_fp8 v[176:179], a[120:121], a[16:17], v[176:179]// 0000000039BC: D3F300B0 1EC22178
	v_mfma_f32_16x16x32_fp8_fp8 v[176:179], a[122:123], a[18:19], v[176:179]// 0000000039C4: D3F300B0 1EC2257A
	v_mfma_f32_16x16x32_fp8_fp8 v[176:179], a[124:125], a[20:21], v[176:179]// 0000000039CC: D3F300B0 1EC2297C
	v_mfma_f32_16x16x32_fp8_fp8 v[176:179], a[126:127], a[22:23], v[176:179]// 0000000039D4: D3F300B0 1EC22D7E
	v_mfma_f32_16x16x32_fp8_fp8 v[132:135], a[96:97], a[24:25], v[132:135]// 0000000039DC: D3F30084 1E123160
	v_mfma_f32_16x16x32_fp8_fp8 v[132:135], a[98:99], a[26:27], v[132:135]// 0000000039E4: D3F30084 1E123562
	v_mfma_f32_16x16x32_fp8_fp8 v[132:135], a[100:101], a[28:29], v[132:135]// 0000000039EC: D3F30084 1E123964
	v_mfma_f32_16x16x32_fp8_fp8 v[132:135], a[102:103], a[30:31], v[132:135]// 0000000039F4: D3F30084 1E123D66
	v_mfma_f32_16x16x32_fp8_fp8 v[148:151], a[104:105], a[24:25], v[148:151]// 0000000039FC: D3F30094 1E523168
	v_mfma_f32_16x16x32_fp8_fp8 v[148:151], a[106:107], a[26:27], v[148:151]// 000000003A04: D3F30094 1E52356A
	v_mfma_f32_16x16x32_fp8_fp8 v[148:151], a[108:109], a[28:29], v[148:151]// 000000003A0C: D3F30094 1E52396C
	v_mfma_f32_16x16x32_fp8_fp8 v[148:151], a[110:111], a[30:31], v[148:151]// 000000003A14: D3F30094 1E523D6E
	v_mfma_f32_16x16x32_fp8_fp8 v[164:167], a[112:113], a[24:25], v[164:167]// 000000003A1C: D3F300A4 1E923170
	v_mfma_f32_16x16x32_fp8_fp8 v[164:167], a[114:115], a[26:27], v[164:167]// 000000003A24: D3F300A4 1E923572
	v_mfma_f32_16x16x32_fp8_fp8 v[164:167], a[116:117], a[28:29], v[164:167]// 000000003A2C: D3F300A4 1E923974
	s_add_u32 s60, 0x180, s80                                  // 000000003A34: 803C50FF 00000180
	s_cmp_lt_u32 s60, s81                                      // 000000003A3C: BF0A513C
	s_cselect_b32 s57, s57, 0                                  // 000000003A40: 85398039
	v_mfma_f32_16x16x32_fp8_fp8 v[164:167], a[118:119], a[30:31], v[164:167]// 000000003A44: D3F300A4 1E923D76
	s_add_u32 s60, 0x100, s80                                  // 000000003A4C: 803C50FF 00000100
	s_cmp_lt_u32 s60, s81                                      // 000000003A54: BF0A513C
	s_cselect_b32 s58, s58, 0                                  // 000000003A58: 853A803A
	v_mfma_f32_16x16x32_fp8_fp8 v[180:183], a[120:121], a[24:25], v[180:183]// 000000003A5C: D3F300B4 1ED23178
	s_add_u32 s24, s58, s24                                    // 000000003A64: 8018183A
	s_addc_u32 s25, 0, s25                                     // 000000003A68: 82191980
	v_mfma_f32_16x16x32_fp8_fp8 v[180:183], a[122:123], a[26:27], v[180:183]// 000000003A6C: D3F300B4 1ED2357A
	s_add_u32 s20, s57, s20                                    // 000000003A74: 80141439
	s_addc_u32 s21, 0, s21                                     // 000000003A78: 82151580
	v_mfma_f32_16x16x32_fp8_fp8 v[180:183], a[124:125], a[28:29], v[180:183]// 000000003A7C: D3F300B4 1ED2397C
	s_add_u32 s84, s83, s84                                    // 000000003A84: 80545453
	s_addc_u32 s85, 0, s85                                     // 000000003A88: 82555580
	v_mfma_f32_16x16x32_fp8_fp8 v[180:183], a[126:127], a[30:31], v[180:183]// 000000003A8C: D3F300B4 1ED23D7E
	s_addk_i32 s80, 0x80                                       // 000000003A94: B7500080
	s_cmp_lt_i32 s80, s81                                      // 000000003A98: BF045150
	s_cbranch_scc0 label_0593                                  // 000000003A9C: BF84016B
	s_waitcnt vmcnt(6) lgkmcnt(0)                              // 000000003AA0: BF8C0076
	s_barrier                                                  // 000000003AA4: BF8A0000
	v_mfma_f32_16x16x32_fp8_fp8 v[56:59], a[64:65], a[32:33], v[56:59]// 000000003AA8: D3F30038 1CE24140
	v_mfma_f32_16x16x32_fp8_fp8 v[56:59], a[66:67], a[34:35], v[56:59]// 000000003AB0: D3F30038 1CE24542
	buffer_load_dwordx4 a[96:99], v52, s[84:87], 0 offen       // 000000003AB8: E05C1000 80956034
	v_mfma_f32_16x16x32_fp8_fp8 v[56:59], a[68:69], a[36:37], v[56:59]// 000000003AC0: D3F30038 1CE24944
	v_mfma_f32_16x16x32_fp8_fp8 v[56:59], a[70:71], a[38:39], v[56:59]// 000000003AC8: D3F30038 1CE24D46
	v_mfma_f32_16x16x32_fp8_fp8 v[60:63], a[64:65], a[40:41], v[60:63]// 000000003AD0: D3F3003C 1CF25140
	v_mfma_f32_16x16x32_fp8_fp8 v[60:63], a[66:67], a[42:43], v[60:63]// 000000003AD8: D3F3003C 1CF25542
	buffer_load_dwordx4 a[100:103], v52, s[84:87], 0 offen offset:1024// 000000003AE0: E05C1400 80956434
	v_mfma_f32_16x16x32_fp8_fp8 v[60:63], a[68:69], a[44:45], v[60:63]// 000000003AE8: D3F3003C 1CF25944
	v_mfma_f32_16x16x32_fp8_fp8 v[60:63], a[70:71], a[46:47], v[60:63]// 000000003AF0: D3F3003C 1CF25D46
	v_mfma_f32_16x16x32_fp8_fp8 v[64:67], a[64:65], a[48:49], v[64:67]// 000000003AF8: D3F30040 1D026140
	v_mfma_f32_16x16x32_fp8_fp8 v[64:67], a[66:67], a[50:51], v[64:67]// 000000003B00: D3F30040 1D026542
	buffer_load_dwordx4 a[104:107], v53, s[84:87], 0 offen     // 000000003B08: E05C1000 80956835
	v_mfma_f32_16x16x32_fp8_fp8 v[64:67], a[68:69], a[52:53], v[64:67]// 000000003B10: D3F30040 1D026944
	v_mfma_f32_16x16x32_fp8_fp8 v[64:67], a[70:71], a[54:55], v[64:67]// 000000003B18: D3F30040 1D026D46
	v_mfma_f32_16x16x32_fp8_fp8 v[68:71], a[64:65], a[56:57], v[68:71]// 000000003B20: D3F30044 1D127140
	v_mfma_f32_16x16x32_fp8_fp8 v[68:71], a[66:67], a[58:59], v[68:71]// 000000003B28: D3F30044 1D127542
	buffer_load_dwordx4 a[108:111], v53, s[84:87], 0 offen offset:1024// 000000003B30: E05C1400 80956C35
	v_mfma_f32_16x16x32_fp8_fp8 v[68:71], a[68:69], a[60:61], v[68:71]// 000000003B38: D3F30044 1D127944
	v_mfma_f32_16x16x32_fp8_fp8 v[68:71], a[70:71], a[62:63], v[68:71]// 000000003B40: D3F30044 1D127D46
	s_waitcnt vmcnt(8)                                         // 000000003B48: BF8C0F78
	v_mfma_f32_16x16x32_fp8_fp8 v[72:75], a[72:73], a[32:33], v[72:75]// 000000003B4C: D3F30048 1D224148
	v_mfma_f32_16x16x32_fp8_fp8 v[72:75], a[74:75], a[34:35], v[72:75]// 000000003B54: D3F30048 1D22454A
	buffer_load_dwordx4 a[112:115], v54, s[84:87], 0 offen     // 000000003B5C: E05C1000 80957036
	v_mfma_f32_16x16x32_fp8_fp8 v[72:75], a[76:77], a[36:37], v[72:75]// 000000003B64: D3F30048 1D22494C
	v_mfma_f32_16x16x32_fp8_fp8 v[72:75], a[78:79], a[38:39], v[72:75]// 000000003B6C: D3F30048 1D224D4E
	v_mfma_f32_16x16x32_fp8_fp8 v[76:79], a[72:73], a[40:41], v[76:79]// 000000003B74: D3F3004C 1D325148
	v_mfma_f32_16x16x32_fp8_fp8 v[76:79], a[74:75], a[42:43], v[76:79]// 000000003B7C: D3F3004C 1D32554A
	buffer_load_dwordx4 a[116:119], v54, s[84:87], 0 offen offset:1024// 000000003B84: E05C1400 80957436
	v_mfma_f32_16x16x32_fp8_fp8 v[76:79], a[76:77], a[44:45], v[76:79]// 000000003B8C: D3F3004C 1D32594C
	v_mfma_f32_16x16x32_fp8_fp8 v[76:79], a[78:79], a[46:47], v[76:79]// 000000003B94: D3F3004C 1D325D4E
	v_mfma_f32_16x16x32_fp8_fp8 v[80:83], a[72:73], a[48:49], v[80:83]// 000000003B9C: D3F30050 1D426148
	v_mfma_f32_16x16x32_fp8_fp8 v[80:83], a[74:75], a[50:51], v[80:83]// 000000003BA4: D3F30050 1D42654A
	buffer_load_dwordx4 a[120:123], v55, s[84:87], 0 offen     // 000000003BAC: E05C1000 80957837
	v_mfma_f32_16x16x32_fp8_fp8 v[80:83], a[76:77], a[52:53], v[80:83]// 000000003BB4: D3F30050 1D42694C
	v_mfma_f32_16x16x32_fp8_fp8 v[80:83], a[78:79], a[54:55], v[80:83]// 000000003BBC: D3F30050 1D426D4E
	v_mfma_f32_16x16x32_fp8_fp8 v[84:87], a[72:73], a[56:57], v[84:87]// 000000003BC4: D3F30054 1D527148
	v_mfma_f32_16x16x32_fp8_fp8 v[84:87], a[74:75], a[58:59], v[84:87]// 000000003BCC: D3F30054 1D52754A
	buffer_load_dwordx4 a[124:127], v55, s[84:87], 0 offen offset:1024// 000000003BD4: E05C1400 80957C37
	buffer_load_dword v44, s[20:23], 0 offen lds               // 000000003BDC: E0511000 8005002C
	s_add_u32 m0, 0x100, s49                                   // 000000003BE4: 807C31FF 00000100
	v_mfma_f32_16x16x32_fp8_fp8 v[84:87], a[76:77], a[60:61], v[84:87]// 000000003BEC: D3F30054 1D52794C
	v_mfma_f32_16x16x32_fp8_fp8 v[84:87], a[78:79], a[62:63], v[84:87]// 000000003BF4: D3F30054 1D527D4E
	buffer_load_dword v45, s[20:23], 0 offen lds               // 000000003BFC: E0511000 8005002D
	s_add_u32 m0, 0x200, s49                                   // 000000003C04: 807C31FF 00000200
	s_waitcnt vmcnt(12)                                        // 000000003C0C: BF8C0F7C
	v_mfma_f32_16x16x32_fp8_fp8 v[88:91], a[80:81], a[32:33], v[88:91]// 000000003C10: D3F30058 1D624150
	v_mfma_f32_16x16x32_fp8_fp8 v[88:91], a[82:83], a[34:35], v[88:91]// 000000003C18: D3F30058 1D624552
	buffer_load_dword v46, s[20:23], 0 offen lds               // 000000003C20: E0511000 8005002E
	s_add_u32 m0, 0x300, s49                                   // 000000003C28: 807C31FF 00000300
	v_mfma_f32_16x16x32_fp8_fp8 v[88:91], a[84:85], a[36:37], v[88:91]// 000000003C30: D3F30058 1D624954
	v_mfma_f32_16x16x32_fp8_fp8 v[88:91], a[86:87], a[38:39], v[88:91]// 000000003C38: D3F30058 1D624D56
	buffer_load_dword v47, s[20:23], 0 offen lds               // 000000003C40: E0511000 8005002F
	s_add_u32 m0, 0x400, s49                                   // 000000003C48: 807C31FF 00000400
	v_mfma_f32_16x16x32_fp8_fp8 v[92:95], a[80:81], a[40:41], v[92:95]// 000000003C50: D3F3005C 1D725150
	v_mfma_f32_16x16x32_fp8_fp8 v[92:95], a[82:83], a[42:43], v[92:95]// 000000003C58: D3F3005C 1D725552
	buffer_load_dword v48, s[20:23], 0 offen lds               // 000000003C60: E0511000 80050030
	s_add_u32 m0, 0x500, s49                                   // 000000003C68: 807C31FF 00000500
	v_mfma_f32_16x16x32_fp8_fp8 v[92:95], a[84:85], a[44:45], v[92:95]// 000000003C70: D3F3005C 1D725954
	v_mfma_f32_16x16x32_fp8_fp8 v[92:95], a[86:87], a[46:47], v[92:95]// 000000003C78: D3F3005C 1D725D56
	buffer_load_dword v49, s[20:23], 0 offen lds               // 000000003C80: E0511000 80050031
	s_add_u32 m0, 0x600, s49                                   // 000000003C88: 807C31FF 00000600
	v_mfma_f32_16x16x32_fp8_fp8 v[96:99], a[80:81], a[48:49], v[96:99]// 000000003C90: D3F30060 1D826150
	v_mfma_f32_16x16x32_fp8_fp8 v[96:99], a[82:83], a[50:51], v[96:99]// 000000003C98: D3F30060 1D826552
	buffer_load_dword v50, s[20:23], 0 offen lds               // 000000003CA0: E0511000 80050032
	s_add_u32 m0, 0x700, s49                                   // 000000003CA8: 807C31FF 00000700
	v_mfma_f32_16x16x32_fp8_fp8 v[96:99], a[84:85], a[52:53], v[96:99]// 000000003CB0: D3F30060 1D826954
	v_mfma_f32_16x16x32_fp8_fp8 v[96:99], a[86:87], a[54:55], v[96:99]// 000000003CB8: D3F30060 1D826D56
	buffer_load_dword v51, s[20:23], 0 offen lds               // 000000003CC0: E0511000 80050033
	s_add_u32 m0, 0, s48                                       // 000000003CC8: 807C3080
	v_mfma_f32_16x16x32_fp8_fp8 v[100:103], a[80:81], a[56:57], v[100:103]// 000000003CCC: D3F30064 1D927150
	v_mfma_f32_16x16x32_fp8_fp8 v[100:103], a[82:83], a[58:59], v[100:103]// 000000003CD4: D3F30064 1D927552
	v_mfma_f32_16x16x32_fp8_fp8 v[100:103], a[84:85], a[60:61], v[100:103]// 000000003CDC: D3F30064 1D927954
	v_mfma_f32_16x16x32_fp8_fp8 v[100:103], a[86:87], a[62:63], v[100:103]// 000000003CE4: D3F30064 1D927D56
	s_waitcnt vmcnt(16)                                        // 000000003CEC: BF8C4F70
	v_mfma_f32_16x16x32_fp8_fp8 v[104:107], a[88:89], a[32:33], v[104:107]// 000000003CF0: D3F30068 1DA24158
	v_mfma_f32_16x16x32_fp8_fp8 v[104:107], a[90:91], a[34:35], v[104:107]// 000000003CF8: D3F30068 1DA2455A
	v_mfma_f32_16x16x32_fp8_fp8 v[104:107], a[92:93], a[36:37], v[104:107]// 000000003D00: D3F30068 1DA2495C
	v_mfma_f32_16x16x32_fp8_fp8 v[104:107], a[94:95], a[38:39], v[104:107]// 000000003D08: D3F30068 1DA24D5E
	v_mfma_f32_16x16x32_fp8_fp8 v[108:111], a[88:89], a[40:41], v[108:111]// 000000003D10: D3F3006C 1DB25158
	v_mfma_f32_16x16x32_fp8_fp8 v[108:111], a[90:91], a[42:43], v[108:111]// 000000003D18: D3F3006C 1DB2555A
	v_mfma_f32_16x16x32_fp8_fp8 v[108:111], a[92:93], a[44:45], v[108:111]// 000000003D20: D3F3006C 1DB2595C
	v_mfma_f32_16x16x32_fp8_fp8 v[108:111], a[94:95], a[46:47], v[108:111]// 000000003D28: D3F3006C 1DB25D5E
	v_mfma_f32_16x16x32_fp8_fp8 v[112:115], a[88:89], a[48:49], v[112:115]// 000000003D30: D3F30070 1DC26158
	v_mfma_f32_16x16x32_fp8_fp8 v[112:115], a[90:91], a[50:51], v[112:115]// 000000003D38: D3F30070 1DC2655A
	v_mfma_f32_16x16x32_fp8_fp8 v[112:115], a[92:93], a[52:53], v[112:115]// 000000003D40: D3F30070 1DC2695C
	v_mfma_f32_16x16x32_fp8_fp8 v[112:115], a[94:95], a[54:55], v[112:115]// 000000003D48: D3F30070 1DC26D5E
	v_mfma_f32_16x16x32_fp8_fp8 v[116:119], a[88:89], a[56:57], v[116:119]// 000000003D50: D3F30074 1DD27158
	v_mfma_f32_16x16x32_fp8_fp8 v[116:119], a[90:91], a[58:59], v[116:119]// 000000003D58: D3F30074 1DD2755A
	s_add_u32 s60, 0x80, s80                                   // 000000003D60: 803C50FF 00000080
	s_cmp_lt_u32 s60, s81                                      // 000000003D68: BF0A513C
	s_cselect_b32 s83, s83, 0                                  // 000000003D6C: 85538053
	v_mfma_f32_16x16x32_fp8_fp8 v[116:119], a[92:93], a[60:61], v[116:119]// 000000003D70: D3F30074 1DD2795C
	v_mfma_f32_16x16x32_fp8_fp8 v[116:119], a[94:95], a[62:63], v[116:119]// 000000003D78: D3F30074 1DD27D5E
	s_waitcnt vmcnt(8)                                         // 000000003D80: BF8C0F78
	v_mfma_f32_16x16x32_fp8_fp8 v[120:123], a[96:97], a[32:33], v[120:123]// 000000003D84: D3F30078 1DE24160
	v_mfma_f32_16x16x32_fp8_fp8 v[120:123], a[98:99], a[34:35], v[120:123]// 000000003D8C: D3F30078 1DE24562
	buffer_load_dwordx4 a[64:67], v52, s[24:27], 0 offen       // 000000003D94: E05C1000 80864034
	v_mfma_f32_16x16x32_fp8_fp8 v[120:123], a[100:101], a[36:37], v[120:123]// 000000003D9C: D3F30078 1DE24964
	v_mfma_f32_16x16x32_fp8_fp8 v[120:123], a[102:103], a[38:39], v[120:123]// 000000003DA4: D3F30078 1DE24D66
	ds_read_b128 a[0:3], v2                                    // 000000003DAC: DBFE0000 00000002
	ds_read_b128 a[4:7], v2 offset:64                          // 000000003DB4: DBFE0040 04000002
	v_mfma_f32_16x16x32_fp8_fp8 v[136:139], a[104:105], a[32:33], v[136:139]// 000000003DBC: D3F30088 1E224168
	v_mfma_f32_16x16x32_fp8_fp8 v[136:139], a[106:107], a[34:35], v[136:139]// 000000003DC4: D3F30088 1E22456A
	buffer_load_dwordx4 a[68:71], v52, s[24:27], 0 offen offset:1024// 000000003DCC: E05C1400 80864434
	v_mfma_f32_16x16x32_fp8_fp8 v[136:139], a[108:109], a[36:37], v[136:139]// 000000003DD4: D3F30088 1E22496C
	v_mfma_f32_16x16x32_fp8_fp8 v[136:139], a[110:111], a[38:39], v[136:139]// 000000003DDC: D3F30088 1E224D6E
	ds_read_b128 a[8:11], v2 offset:512                        // 000000003DE4: DBFE0200 08000002
	ds_read_b128 a[12:15], v2 offset:576                       // 000000003DEC: DBFE0240 0C000002
	v_mfma_f32_16x16x32_fp8_fp8 v[152:155], a[112:113], a[32:33], v[152:155]// 000000003DF4: D3F30098 1E624170
	v_mfma_f32_16x16x32_fp8_fp8 v[152:155], a[114:115], a[34:35], v[152:155]// 000000003DFC: D3F30098 1E624572
	buffer_load_dwordx4 a[72:75], v53, s[24:27], 0 offen       // 000000003E04: E05C1000 80864835
	v_mfma_f32_16x16x32_fp8_fp8 v[152:155], a[116:117], a[36:37], v[152:155]// 000000003E0C: D3F30098 1E624974
	v_mfma_f32_16x16x32_fp8_fp8 v[152:155], a[118:119], a[38:39], v[152:155]// 000000003E14: D3F30098 1E624D76
	ds_read_b128 a[16:19], v2 offset:1024                      // 000000003E1C: DBFE0400 10000002
	ds_read_b128 a[20:23], v2 offset:1088                      // 000000003E24: DBFE0440 14000002
	v_mfma_f32_16x16x32_fp8_fp8 v[168:171], a[120:121], a[32:33], v[168:171]// 000000003E2C: D3F300A8 1EA24178
	v_mfma_f32_16x16x32_fp8_fp8 v[168:171], a[122:123], a[34:35], v[168:171]// 000000003E34: D3F300A8 1EA2457A
	buffer_load_dwordx4 a[76:79], v53, s[24:27], 0 offen offset:1024// 000000003E3C: E05C1400 80864C35
	v_mfma_f32_16x16x32_fp8_fp8 v[168:171], a[124:125], a[36:37], v[168:171]// 000000003E44: D3F300A8 1EA2497C
	v_mfma_f32_16x16x32_fp8_fp8 v[168:171], a[126:127], a[38:39], v[168:171]// 000000003E4C: D3F300A8 1EA24D7E
	ds_read_b128 a[24:27], v2 offset:1536                      // 000000003E54: DBFE0600 18000002
	ds_read_b128 a[28:31], v2 offset:1600                      // 000000003E5C: DBFE0640 1C000002
	v_mfma_f32_16x16x32_fp8_fp8 v[124:127], a[96:97], a[40:41], v[124:127]// 000000003E64: D3F3007C 1DF25160
	v_mfma_f32_16x16x32_fp8_fp8 v[124:127], a[98:99], a[42:43], v[124:127]// 000000003E6C: D3F3007C 1DF25562
	buffer_load_dwordx4 a[80:83], v54, s[24:27], 0 offen       // 000000003E74: E05C1000 80865036
	v_mfma_f32_16x16x32_fp8_fp8 v[124:127], a[100:101], a[44:45], v[124:127]// 000000003E7C: D3F3007C 1DF25964
	v_mfma_f32_16x16x32_fp8_fp8 v[124:127], a[102:103], a[46:47], v[124:127]// 000000003E84: D3F3007C 1DF25D66
	v_mfma_f32_16x16x32_fp8_fp8 v[140:143], a[104:105], a[40:41], v[140:143]// 000000003E8C: D3F3008C 1E325168
	v_mfma_f32_16x16x32_fp8_fp8 v[140:143], a[106:107], a[42:43], v[140:143]// 000000003E94: D3F3008C 1E32556A
	buffer_load_dwordx4 a[84:87], v54, s[24:27], 0 offen offset:1024// 000000003E9C: E05C1400 80865436
	v_mfma_f32_16x16x32_fp8_fp8 v[140:143], a[108:109], a[44:45], v[140:143]// 000000003EA4: D3F3008C 1E32596C
	v_mfma_f32_16x16x32_fp8_fp8 v[140:143], a[110:111], a[46:47], v[140:143]// 000000003EAC: D3F3008C 1E325D6E
	v_mfma_f32_16x16x32_fp8_fp8 v[156:159], a[112:113], a[40:41], v[156:159]// 000000003EB4: D3F3009C 1E725170
	v_mfma_f32_16x16x32_fp8_fp8 v[156:159], a[114:115], a[42:43], v[156:159]// 000000003EBC: D3F3009C 1E725572
	buffer_load_dwordx4 a[88:91], v55, s[24:27], 0 offen       // 000000003EC4: E05C1000 80865837
	v_mfma_f32_16x16x32_fp8_fp8 v[156:159], a[116:117], a[44:45], v[156:159]// 000000003ECC: D3F3009C 1E725974
	v_mfma_f32_16x16x32_fp8_fp8 v[156:159], a[118:119], a[46:47], v[156:159]// 000000003ED4: D3F3009C 1E725D76
	v_mfma_f32_16x16x32_fp8_fp8 v[172:175], a[120:121], a[40:41], v[172:175]// 000000003EDC: D3F300AC 1EB25178
	v_mfma_f32_16x16x32_fp8_fp8 v[172:175], a[122:123], a[42:43], v[172:175]// 000000003EE4: D3F300AC 1EB2557A
	buffer_load_dwordx4 a[92:95], v55, s[24:27], 0 offen offset:1024// 000000003EEC: E05C1400 80865C37
	v_mfma_f32_16x16x32_fp8_fp8 v[172:175], a[124:125], a[44:45], v[172:175]// 000000003EF4: D3F300AC 1EB2597C
	v_mfma_f32_16x16x32_fp8_fp8 v[172:175], a[126:127], a[46:47], v[172:175]// 000000003EFC: D3F300AC 1EB25D7E
	v_mfma_f32_16x16x32_fp8_fp8 v[128:131], a[96:97], a[48:49], v[128:131]// 000000003F04: D3F30080 1E026160
	v_mfma_f32_16x16x32_fp8_fp8 v[128:131], a[98:99], a[50:51], v[128:131]// 000000003F0C: D3F30080 1E026562
	v_mfma_f32_16x16x32_fp8_fp8 v[128:131], a[100:101], a[52:53], v[128:131]// 000000003F14: D3F30080 1E026964
	v_mfma_f32_16x16x32_fp8_fp8 v[128:131], a[102:103], a[54:55], v[128:131]// 000000003F1C: D3F30080 1E026D66
	v_mfma_f32_16x16x32_fp8_fp8 v[144:147], a[104:105], a[48:49], v[144:147]// 000000003F24: D3F30090 1E426168
	v_mfma_f32_16x16x32_fp8_fp8 v[144:147], a[106:107], a[50:51], v[144:147]// 000000003F2C: D3F30090 1E42656A
	v_mfma_f32_16x16x32_fp8_fp8 v[144:147], a[108:109], a[52:53], v[144:147]// 000000003F34: D3F30090 1E42696C
	v_mfma_f32_16x16x32_fp8_fp8 v[144:147], a[110:111], a[54:55], v[144:147]// 000000003F3C: D3F30090 1E426D6E
	v_mfma_f32_16x16x32_fp8_fp8 v[160:163], a[112:113], a[48:49], v[160:163]// 000000003F44: D3F300A0 1E826170
	v_mfma_f32_16x16x32_fp8_fp8 v[160:163], a[114:115], a[50:51], v[160:163]// 000000003F4C: D3F300A0 1E826572
	v_mfma_f32_16x16x32_fp8_fp8 v[160:163], a[116:117], a[52:53], v[160:163]// 000000003F54: D3F300A0 1E826974
	v_mfma_f32_16x16x32_fp8_fp8 v[160:163], a[118:119], a[54:55], v[160:163]// 000000003F5C: D3F300A0 1E826D76
	v_mfma_f32_16x16x32_fp8_fp8 v[176:179], a[120:121], a[48:49], v[176:179]// 000000003F64: D3F300B0 1EC26178
	v_mfma_f32_16x16x32_fp8_fp8 v[176:179], a[122:123], a[50:51], v[176:179]// 000000003F6C: D3F300B0 1EC2657A
	v_mfma_f32_16x16x32_fp8_fp8 v[176:179], a[124:125], a[52:53], v[176:179]// 000000003F74: D3F300B0 1EC2697C
	v_mfma_f32_16x16x32_fp8_fp8 v[176:179], a[126:127], a[54:55], v[176:179]// 000000003F7C: D3F300B0 1EC26D7E
	v_mfma_f32_16x16x32_fp8_fp8 v[132:135], a[96:97], a[56:57], v[132:135]// 000000003F84: D3F30084 1E127160
	v_mfma_f32_16x16x32_fp8_fp8 v[132:135], a[98:99], a[58:59], v[132:135]// 000000003F8C: D3F30084 1E127562
	v_mfma_f32_16x16x32_fp8_fp8 v[132:135], a[100:101], a[60:61], v[132:135]// 000000003F94: D3F30084 1E127964
	v_mfma_f32_16x16x32_fp8_fp8 v[132:135], a[102:103], a[62:63], v[132:135]// 000000003F9C: D3F30084 1E127D66
	v_mfma_f32_16x16x32_fp8_fp8 v[148:151], a[104:105], a[56:57], v[148:151]// 000000003FA4: D3F30094 1E527168
	v_mfma_f32_16x16x32_fp8_fp8 v[148:151], a[106:107], a[58:59], v[148:151]// 000000003FAC: D3F30094 1E52756A
	v_mfma_f32_16x16x32_fp8_fp8 v[148:151], a[108:109], a[60:61], v[148:151]// 000000003FB4: D3F30094 1E52796C
	v_mfma_f32_16x16x32_fp8_fp8 v[148:151], a[110:111], a[62:63], v[148:151]// 000000003FBC: D3F30094 1E527D6E
	v_mfma_f32_16x16x32_fp8_fp8 v[164:167], a[112:113], a[56:57], v[164:167]// 000000003FC4: D3F300A4 1E927170
	v_mfma_f32_16x16x32_fp8_fp8 v[164:167], a[114:115], a[58:59], v[164:167]// 000000003FCC: D3F300A4 1E927572
	v_mfma_f32_16x16x32_fp8_fp8 v[164:167], a[116:117], a[60:61], v[164:167]// 000000003FD4: D3F300A4 1E927974
	s_add_u32 s60, 0x180, s80                                  // 000000003FDC: 803C50FF 00000180
	s_cmp_lt_u32 s60, s81                                      // 000000003FE4: BF0A513C
	s_cselect_b32 s57, s57, 0                                  // 000000003FE8: 85398039
	v_mfma_f32_16x16x32_fp8_fp8 v[164:167], a[118:119], a[62:63], v[164:167]// 000000003FEC: D3F300A4 1E927D76
	s_add_u32 s60, 0x100, s80                                  // 000000003FF4: 803C50FF 00000100
	s_cmp_lt_u32 s60, s81                                      // 000000003FFC: BF0A513C
	s_cselect_b32 s58, s58, 0                                  // 000000004000: 853A803A
	v_mfma_f32_16x16x32_fp8_fp8 v[180:183], a[120:121], a[56:57], v[180:183]// 000000004004: D3F300B4 1ED27178
	s_add_u32 s24, s58, s24                                    // 00000000400C: 8018183A
	s_addc_u32 s25, 0, s25                                     // 000000004010: 82191980
	v_mfma_f32_16x16x32_fp8_fp8 v[180:183], a[122:123], a[58:59], v[180:183]// 000000004014: D3F300B4 1ED2757A
	s_add_u32 s20, s57, s20                                    // 00000000401C: 80141439
	s_addc_u32 s21, 0, s21                                     // 000000004020: 82151580
	v_mfma_f32_16x16x32_fp8_fp8 v[180:183], a[124:125], a[60:61], v[180:183]// 000000004024: D3F300B4 1ED2797C
	s_add_u32 s84, s83, s84                                    // 00000000402C: 80545453
	s_addc_u32 s85, 0, s85                                     // 000000004030: 82555580
	v_mfma_f32_16x16x32_fp8_fp8 v[180:183], a[126:127], a[62:63], v[180:183]// 000000004034: D3F300B4 1ED27D7E
	s_addk_i32 s80, 0x80                                       // 00000000403C: B7500080
	s_cmp_lt_i32 s80, s81                                      // 000000004040: BF045150
	s_cbranch_scc0 label_0593                                  // 000000004044: BF840001
	s_branch label_02BE                                        // 000000004048: BF82FD2B

000000000000404c <label_0593>:
	v_mul_f32_dpp v56, v24, v56 row_newbcast:0 row_mask:0xf bank_mask:0xf// 00000000404C: 0A7070FA FF015018
	v_mul_f32_dpp v57, v24, v57 row_newbcast:1 row_mask:0xf bank_mask:0xf// 000000004054: 0A7272FA FF015118
	v_mul_f32_dpp v58, v24, v58 row_newbcast:2 row_mask:0xf bank_mask:0xf// 00000000405C: 0A7474FA FF015218
	v_mul_f32_dpp v59, v24, v59 row_newbcast:3 row_mask:0xf bank_mask:0xf// 000000004064: 0A7676FA FF015318
	v_mul_f32_dpp v60, v24, v60 row_newbcast:0 row_mask:0xf bank_mask:0xf// 00000000406C: 0A7878FA FF015018
	v_mul_f32_dpp v61, v24, v61 row_newbcast:1 row_mask:0xf bank_mask:0xf// 000000004074: 0A7A7AFA FF015118
	v_mul_f32_dpp v62, v24, v62 row_newbcast:2 row_mask:0xf bank_mask:0xf// 00000000407C: 0A7C7CFA FF015218
	v_mul_f32_dpp v63, v24, v63 row_newbcast:3 row_mask:0xf bank_mask:0xf// 000000004084: 0A7E7EFA FF015318
	v_mul_f32_dpp v64, v24, v64 row_newbcast:0 row_mask:0xf bank_mask:0xf// 00000000408C: 0A8080FA FF015018
	v_mul_f32_dpp v65, v24, v65 row_newbcast:1 row_mask:0xf bank_mask:0xf// 000000004094: 0A8282FA FF015118
	v_mul_f32_dpp v66, v24, v66 row_newbcast:2 row_mask:0xf bank_mask:0xf// 00000000409C: 0A8484FA FF015218
	v_mul_f32_dpp v67, v24, v67 row_newbcast:3 row_mask:0xf bank_mask:0xf// 0000000040A4: 0A8686FA FF015318
	v_mul_f32_dpp v68, v24, v68 row_newbcast:0 row_mask:0xf bank_mask:0xf// 0000000040AC: 0A8888FA FF015018
	v_mul_f32_dpp v69, v24, v69 row_newbcast:1 row_mask:0xf bank_mask:0xf// 0000000040B4: 0A8A8AFA FF015118
	v_mul_f32_dpp v70, v24, v70 row_newbcast:2 row_mask:0xf bank_mask:0xf// 0000000040BC: 0A8C8CFA FF015218
	v_mul_f32_dpp v71, v24, v71 row_newbcast:3 row_mask:0xf bank_mask:0xf// 0000000040C4: 0A8E8EFA FF015318
	v_mul_f32_dpp v72, v24, v72 row_newbcast:4 row_mask:0xf bank_mask:0xf// 0000000040CC: 0A9090FA FF015418
	v_mul_f32_dpp v73, v24, v73 row_newbcast:5 row_mask:0xf bank_mask:0xf// 0000000040D4: 0A9292FA FF015518
	v_mul_f32_dpp v74, v24, v74 row_newbcast:6 row_mask:0xf bank_mask:0xf// 0000000040DC: 0A9494FA FF015618
	v_mul_f32_dpp v75, v24, v75 row_newbcast:7 row_mask:0xf bank_mask:0xf// 0000000040E4: 0A9696FA FF015718
	v_mul_f32_dpp v76, v24, v76 row_newbcast:4 row_mask:0xf bank_mask:0xf// 0000000040EC: 0A9898FA FF015418
	v_mul_f32_dpp v77, v24, v77 row_newbcast:5 row_mask:0xf bank_mask:0xf// 0000000040F4: 0A9A9AFA FF015518
	v_mul_f32_dpp v78, v24, v78 row_newbcast:6 row_mask:0xf bank_mask:0xf// 0000000040FC: 0A9C9CFA FF015618
	v_mul_f32_dpp v79, v24, v79 row_newbcast:7 row_mask:0xf bank_mask:0xf// 000000004104: 0A9E9EFA FF015718
	v_mul_f32_dpp v80, v24, v80 row_newbcast:4 row_mask:0xf bank_mask:0xf// 00000000410C: 0AA0A0FA FF015418
	v_mul_f32_dpp v81, v24, v81 row_newbcast:5 row_mask:0xf bank_mask:0xf// 000000004114: 0AA2A2FA FF015518
	v_mul_f32_dpp v82, v24, v82 row_newbcast:6 row_mask:0xf bank_mask:0xf// 00000000411C: 0AA4A4FA FF015618
	v_mul_f32_dpp v83, v24, v83 row_newbcast:7 row_mask:0xf bank_mask:0xf// 000000004124: 0AA6A6FA FF015718
	v_mul_f32_dpp v84, v24, v84 row_newbcast:4 row_mask:0xf bank_mask:0xf// 00000000412C: 0AA8A8FA FF015418
	v_mul_f32_dpp v85, v24, v85 row_newbcast:5 row_mask:0xf bank_mask:0xf// 000000004134: 0AAAAAFA FF015518
	v_mul_f32_dpp v86, v24, v86 row_newbcast:6 row_mask:0xf bank_mask:0xf// 00000000413C: 0AACACFA FF015618
	v_mul_f32_dpp v87, v24, v87 row_newbcast:7 row_mask:0xf bank_mask:0xf// 000000004144: 0AAEAEFA FF015718
	v_mul_f32_dpp v88, v24, v88 row_newbcast:8 row_mask:0xf bank_mask:0xf// 00000000414C: 0AB0B0FA FF015818
	v_mul_f32_dpp v89, v24, v89 row_newbcast:9 row_mask:0xf bank_mask:0xf// 000000004154: 0AB2B2FA FF015918
	v_mul_f32_dpp v90, v24, v90 row_newbcast:10 row_mask:0xf bank_mask:0xf// 00000000415C: 0AB4B4FA FF015A18
	v_mul_f32_dpp v91, v24, v91 row_newbcast:11 row_mask:0xf bank_mask:0xf// 000000004164: 0AB6B6FA FF015B18
	v_mul_f32_dpp v92, v24, v92 row_newbcast:8 row_mask:0xf bank_mask:0xf// 00000000416C: 0AB8B8FA FF015818
	v_mul_f32_dpp v93, v24, v93 row_newbcast:9 row_mask:0xf bank_mask:0xf// 000000004174: 0ABABAFA FF015918
	v_mul_f32_dpp v94, v24, v94 row_newbcast:10 row_mask:0xf bank_mask:0xf// 00000000417C: 0ABCBCFA FF015A18
	v_mul_f32_dpp v95, v24, v95 row_newbcast:11 row_mask:0xf bank_mask:0xf// 000000004184: 0ABEBEFA FF015B18
	v_mul_f32_dpp v96, v24, v96 row_newbcast:8 row_mask:0xf bank_mask:0xf// 00000000418C: 0AC0C0FA FF015818
	v_mul_f32_dpp v97, v24, v97 row_newbcast:9 row_mask:0xf bank_mask:0xf// 000000004194: 0AC2C2FA FF015918
	v_mul_f32_dpp v98, v24, v98 row_newbcast:10 row_mask:0xf bank_mask:0xf// 00000000419C: 0AC4C4FA FF015A18
	v_mul_f32_dpp v99, v24, v99 row_newbcast:11 row_mask:0xf bank_mask:0xf// 0000000041A4: 0AC6C6FA FF015B18
	v_mul_f32_dpp v100, v24, v100 row_newbcast:8 row_mask:0xf bank_mask:0xf// 0000000041AC: 0AC8C8FA FF015818
	v_mul_f32_dpp v101, v24, v101 row_newbcast:9 row_mask:0xf bank_mask:0xf// 0000000041B4: 0ACACAFA FF015918
	v_mul_f32_dpp v102, v24, v102 row_newbcast:10 row_mask:0xf bank_mask:0xf// 0000000041BC: 0ACCCCFA FF015A18
	v_mul_f32_dpp v103, v24, v103 row_newbcast:11 row_mask:0xf bank_mask:0xf// 0000000041C4: 0ACECEFA FF015B18
	v_mul_f32_dpp v104, v24, v104 row_newbcast:12 row_mask:0xf bank_mask:0xf// 0000000041CC: 0AD0D0FA FF015C18
	v_mul_f32_dpp v105, v24, v105 row_newbcast:13 row_mask:0xf bank_mask:0xf// 0000000041D4: 0AD2D2FA FF015D18
	v_mul_f32_dpp v106, v24, v106 row_newbcast:14 row_mask:0xf bank_mask:0xf// 0000000041DC: 0AD4D4FA FF015E18
	v_mul_f32_dpp v107, v24, v107 row_newbcast:15 row_mask:0xf bank_mask:0xf// 0000000041E4: 0AD6D6FA FF015F18
	v_mul_f32_dpp v108, v24, v108 row_newbcast:12 row_mask:0xf bank_mask:0xf// 0000000041EC: 0AD8D8FA FF015C18
	v_mul_f32_dpp v109, v24, v109 row_newbcast:13 row_mask:0xf bank_mask:0xf// 0000000041F4: 0ADADAFA FF015D18
	v_mul_f32_dpp v110, v24, v110 row_newbcast:14 row_mask:0xf bank_mask:0xf// 0000000041FC: 0ADCDCFA FF015E18
	v_mul_f32_dpp v111, v24, v111 row_newbcast:15 row_mask:0xf bank_mask:0xf// 000000004204: 0ADEDEFA FF015F18
	v_mul_f32_dpp v112, v24, v112 row_newbcast:12 row_mask:0xf bank_mask:0xf// 00000000420C: 0AE0E0FA FF015C18
	v_mul_f32_dpp v113, v24, v113 row_newbcast:13 row_mask:0xf bank_mask:0xf// 000000004214: 0AE2E2FA FF015D18
	v_mul_f32_dpp v114, v24, v114 row_newbcast:14 row_mask:0xf bank_mask:0xf// 00000000421C: 0AE4E4FA FF015E18
	v_mul_f32_dpp v115, v24, v115 row_newbcast:15 row_mask:0xf bank_mask:0xf// 000000004224: 0AE6E6FA FF015F18
	v_mul_f32_dpp v116, v24, v116 row_newbcast:12 row_mask:0xf bank_mask:0xf// 00000000422C: 0AE8E8FA FF015C18
	v_mul_f32_dpp v117, v24, v117 row_newbcast:13 row_mask:0xf bank_mask:0xf// 000000004234: 0AEAEAFA FF015D18
	v_mul_f32_dpp v118, v24, v118 row_newbcast:14 row_mask:0xf bank_mask:0xf// 00000000423C: 0AECECFA FF015E18
	v_mul_f32_dpp v119, v24, v119 row_newbcast:15 row_mask:0xf bank_mask:0xf// 000000004244: 0AEEEEFA FF015F18
	v_mul_f32_dpp v120, v26, v120 row_newbcast:0 row_mask:0xf bank_mask:0xf// 00000000424C: 0AF0F0FA FF01501A
	v_mul_f32_dpp v121, v26, v121 row_newbcast:1 row_mask:0xf bank_mask:0xf// 000000004254: 0AF2F2FA FF01511A
	v_mul_f32_dpp v122, v26, v122 row_newbcast:2 row_mask:0xf bank_mask:0xf// 00000000425C: 0AF4F4FA FF01521A
	v_mul_f32_dpp v123, v26, v123 row_newbcast:3 row_mask:0xf bank_mask:0xf// 000000004264: 0AF6F6FA FF01531A
	v_mul_f32_dpp v124, v26, v124 row_newbcast:0 row_mask:0xf bank_mask:0xf// 00000000426C: 0AF8F8FA FF01501A
	v_mul_f32_dpp v125, v26, v125 row_newbcast:1 row_mask:0xf bank_mask:0xf// 000000004274: 0AFAFAFA FF01511A
	v_mul_f32_dpp v126, v26, v126 row_newbcast:2 row_mask:0xf bank_mask:0xf// 00000000427C: 0AFCFCFA FF01521A
	v_mul_f32_dpp v127, v26, v127 row_newbcast:3 row_mask:0xf bank_mask:0xf// 000000004284: 0AFEFEFA FF01531A
	v_mul_f32_dpp v128, v26, v128 row_newbcast:0 row_mask:0xf bank_mask:0xf// 00000000428C: 0B0100FA FF01501A
	v_mul_f32_dpp v129, v26, v129 row_newbcast:1 row_mask:0xf bank_mask:0xf// 000000004294: 0B0302FA FF01511A
	v_mul_f32_dpp v130, v26, v130 row_newbcast:2 row_mask:0xf bank_mask:0xf// 00000000429C: 0B0504FA FF01521A
	v_mul_f32_dpp v131, v26, v131 row_newbcast:3 row_mask:0xf bank_mask:0xf// 0000000042A4: 0B0706FA FF01531A
	v_mul_f32_dpp v132, v26, v132 row_newbcast:0 row_mask:0xf bank_mask:0xf// 0000000042AC: 0B0908FA FF01501A
	v_mul_f32_dpp v133, v26, v133 row_newbcast:1 row_mask:0xf bank_mask:0xf// 0000000042B4: 0B0B0AFA FF01511A
	v_mul_f32_dpp v134, v26, v134 row_newbcast:2 row_mask:0xf bank_mask:0xf// 0000000042BC: 0B0D0CFA FF01521A
	v_mul_f32_dpp v135, v26, v135 row_newbcast:3 row_mask:0xf bank_mask:0xf// 0000000042C4: 0B0F0EFA FF01531A
	v_mul_f32_dpp v136, v26, v136 row_newbcast:4 row_mask:0xf bank_mask:0xf// 0000000042CC: 0B1110FA FF01541A
	v_mul_f32_dpp v137, v26, v137 row_newbcast:5 row_mask:0xf bank_mask:0xf// 0000000042D4: 0B1312FA FF01551A
	v_mul_f32_dpp v138, v26, v138 row_newbcast:6 row_mask:0xf bank_mask:0xf// 0000000042DC: 0B1514FA FF01561A
	v_mul_f32_dpp v139, v26, v139 row_newbcast:7 row_mask:0xf bank_mask:0xf// 0000000042E4: 0B1716FA FF01571A
	v_mul_f32_dpp v140, v26, v140 row_newbcast:4 row_mask:0xf bank_mask:0xf// 0000000042EC: 0B1918FA FF01541A
	v_mul_f32_dpp v141, v26, v141 row_newbcast:5 row_mask:0xf bank_mask:0xf// 0000000042F4: 0B1B1AFA FF01551A
	v_mul_f32_dpp v142, v26, v142 row_newbcast:6 row_mask:0xf bank_mask:0xf// 0000000042FC: 0B1D1CFA FF01561A
	v_mul_f32_dpp v143, v26, v143 row_newbcast:7 row_mask:0xf bank_mask:0xf// 000000004304: 0B1F1EFA FF01571A
	v_mul_f32_dpp v144, v26, v144 row_newbcast:4 row_mask:0xf bank_mask:0xf// 00000000430C: 0B2120FA FF01541A
	v_mul_f32_dpp v145, v26, v145 row_newbcast:5 row_mask:0xf bank_mask:0xf// 000000004314: 0B2322FA FF01551A
	v_mul_f32_dpp v146, v26, v146 row_newbcast:6 row_mask:0xf bank_mask:0xf// 00000000431C: 0B2524FA FF01561A
	v_mul_f32_dpp v147, v26, v147 row_newbcast:7 row_mask:0xf bank_mask:0xf// 000000004324: 0B2726FA FF01571A
	v_mul_f32_dpp v148, v26, v148 row_newbcast:4 row_mask:0xf bank_mask:0xf// 00000000432C: 0B2928FA FF01541A
	v_mul_f32_dpp v149, v26, v149 row_newbcast:5 row_mask:0xf bank_mask:0xf// 000000004334: 0B2B2AFA FF01551A
	v_mul_f32_dpp v150, v26, v150 row_newbcast:6 row_mask:0xf bank_mask:0xf// 00000000433C: 0B2D2CFA FF01561A
	v_mul_f32_dpp v151, v26, v151 row_newbcast:7 row_mask:0xf bank_mask:0xf// 000000004344: 0B2F2EFA FF01571A
	v_mul_f32_dpp v152, v26, v152 row_newbcast:8 row_mask:0xf bank_mask:0xf// 00000000434C: 0B3130FA FF01581A
	v_mul_f32_dpp v153, v26, v153 row_newbcast:9 row_mask:0xf bank_mask:0xf// 000000004354: 0B3332FA FF01591A
	v_mul_f32_dpp v154, v26, v154 row_newbcast:10 row_mask:0xf bank_mask:0xf// 00000000435C: 0B3534FA FF015A1A
	v_mul_f32_dpp v155, v26, v155 row_newbcast:11 row_mask:0xf bank_mask:0xf// 000000004364: 0B3736FA FF015B1A
	v_mul_f32_dpp v156, v26, v156 row_newbcast:8 row_mask:0xf bank_mask:0xf// 00000000436C: 0B3938FA FF01581A
	v_mul_f32_dpp v157, v26, v157 row_newbcast:9 row_mask:0xf bank_mask:0xf// 000000004374: 0B3B3AFA FF01591A
	v_mul_f32_dpp v158, v26, v158 row_newbcast:10 row_mask:0xf bank_mask:0xf// 00000000437C: 0B3D3CFA FF015A1A
	v_mul_f32_dpp v159, v26, v159 row_newbcast:11 row_mask:0xf bank_mask:0xf// 000000004384: 0B3F3EFA FF015B1A
	v_mul_f32_dpp v160, v26, v160 row_newbcast:8 row_mask:0xf bank_mask:0xf// 00000000438C: 0B4140FA FF01581A
	v_mul_f32_dpp v161, v26, v161 row_newbcast:9 row_mask:0xf bank_mask:0xf// 000000004394: 0B4342FA FF01591A
	v_mul_f32_dpp v162, v26, v162 row_newbcast:10 row_mask:0xf bank_mask:0xf// 00000000439C: 0B4544FA FF015A1A
	v_mul_f32_dpp v163, v26, v163 row_newbcast:11 row_mask:0xf bank_mask:0xf// 0000000043A4: 0B4746FA FF015B1A
	v_mul_f32_dpp v164, v26, v164 row_newbcast:8 row_mask:0xf bank_mask:0xf// 0000000043AC: 0B4948FA FF01581A
	v_mul_f32_dpp v165, v26, v165 row_newbcast:9 row_mask:0xf bank_mask:0xf// 0000000043B4: 0B4B4AFA FF01591A
	v_mul_f32_dpp v166, v26, v166 row_newbcast:10 row_mask:0xf bank_mask:0xf// 0000000043BC: 0B4D4CFA FF015A1A
	v_mul_f32_dpp v167, v26, v167 row_newbcast:11 row_mask:0xf bank_mask:0xf// 0000000043C4: 0B4F4EFA FF015B1A
	v_mul_f32_dpp v168, v26, v168 row_newbcast:12 row_mask:0xf bank_mask:0xf// 0000000043CC: 0B5150FA FF015C1A
	v_mul_f32_dpp v169, v26, v169 row_newbcast:13 row_mask:0xf bank_mask:0xf// 0000000043D4: 0B5352FA FF015D1A
	v_mul_f32_dpp v170, v26, v170 row_newbcast:14 row_mask:0xf bank_mask:0xf// 0000000043DC: 0B5554FA FF015E1A
	v_mul_f32_dpp v171, v26, v171 row_newbcast:15 row_mask:0xf bank_mask:0xf// 0000000043E4: 0B5756FA FF015F1A
	v_mul_f32_dpp v172, v26, v172 row_newbcast:12 row_mask:0xf bank_mask:0xf// 0000000043EC: 0B5958FA FF015C1A
	v_mul_f32_dpp v173, v26, v173 row_newbcast:13 row_mask:0xf bank_mask:0xf// 0000000043F4: 0B5B5AFA FF015D1A
	v_mul_f32_dpp v174, v26, v174 row_newbcast:14 row_mask:0xf bank_mask:0xf// 0000000043FC: 0B5D5CFA FF015E1A
	v_mul_f32_dpp v175, v26, v175 row_newbcast:15 row_mask:0xf bank_mask:0xf// 000000004404: 0B5F5EFA FF015F1A
	v_mul_f32_dpp v176, v26, v176 row_newbcast:12 row_mask:0xf bank_mask:0xf// 00000000440C: 0B6160FA FF015C1A
	v_mul_f32_dpp v177, v26, v177 row_newbcast:13 row_mask:0xf bank_mask:0xf// 000000004414: 0B6362FA FF015D1A
	v_mul_f32_dpp v178, v26, v178 row_newbcast:14 row_mask:0xf bank_mask:0xf// 00000000441C: 0B6564FA FF015E1A
	v_mul_f32_dpp v179, v26, v179 row_newbcast:15 row_mask:0xf bank_mask:0xf// 000000004424: 0B6766FA FF015F1A
	v_mul_f32_dpp v180, v26, v180 row_newbcast:12 row_mask:0xf bank_mask:0xf// 00000000442C: 0B6968FA FF015C1A
	v_mul_f32_dpp v181, v26, v181 row_newbcast:13 row_mask:0xf bank_mask:0xf// 000000004434: 0B6B6AFA FF015D1A
	v_mul_f32_dpp v182, v26, v182 row_newbcast:14 row_mask:0xf bank_mask:0xf// 00000000443C: 0B6D6CFA FF015E1A
	v_mul_f32_dpp v183, v26, v183 row_newbcast:15 row_mask:0xf bank_mask:0xf// 000000004444: 0B6F6EFA FF015F1A
	v_mul_f32_e32 v32, v32, v184                               // 00000000444C: 0A417120
	v_mov_b32_e32 v4, v32                                      // 000000004450: 7E080320
	v_mov_b32_e32 v5, v4                                       // 000000004454: 7E0A0304
	v_pk_mul_f32 v[56:57], v[4:5], v[56:57]                    // 000000004458: D3B14038 18027104
	v_pk_mul_f32 v[120:121], v[4:5], v[120:121]                // 000000004460: D3B14078 1802F104
	v_pk_mul_f32 v[58:59], v[4:5], v[58:59]                    // 000000004468: D3B1403A 18027504
	v_pk_mul_f32 v[122:123], v[4:5], v[122:123]                // 000000004470: D3B1407A 1802F504
	v_pk_mul_f32 v[72:73], v[4:5], v[72:73]                    // 000000004478: D3B14048 18029104
	v_pk_mul_f32 v[136:137], v[4:5], v[136:137]                // 000000004480: D3B14088 18031104
	v_pk_mul_f32 v[74:75], v[4:5], v[74:75]                    // 000000004488: D3B1404A 18029504
	v_pk_mul_f32 v[138:139], v[4:5], v[138:139]                // 000000004490: D3B1408A 18031504
	v_pk_mul_f32 v[88:89], v[4:5], v[88:89]                    // 000000004498: D3B14058 1802B104
	v_pk_mul_f32 v[152:153], v[4:5], v[152:153]                // 0000000044A0: D3B14098 18033104
	v_pk_mul_f32 v[90:91], v[4:5], v[90:91]                    // 0000000044A8: D3B1405A 1802B504
	v_pk_mul_f32 v[154:155], v[4:5], v[154:155]                // 0000000044B0: D3B1409A 18033504
	v_pk_mul_f32 v[104:105], v[4:5], v[104:105]                // 0000000044B8: D3B14068 1802D104
	v_pk_mul_f32 v[168:169], v[4:5], v[168:169]                // 0000000044C0: D3B140A8 18035104
	v_pk_mul_f32 v[106:107], v[4:5], v[106:107]                // 0000000044C8: D3B1406A 1802D504
	v_pk_mul_f32 v[170:171], v[4:5], v[170:171]                // 0000000044D0: D3B140AA 18035504
	v_mul_f32_e32 v33, v33, v185                               // 0000000044D8: 0A437321
	v_mov_b32_e32 v4, v33                                      // 0000000044DC: 7E080321
	v_mov_b32_e32 v5, v4                                       // 0000000044E0: 7E0A0304
	v_pk_mul_f32 v[60:61], v[4:5], v[60:61]                    // 0000000044E4: D3B1403C 18027904
	v_pk_mul_f32 v[124:125], v[4:5], v[124:125]                // 0000000044EC: D3B1407C 1802F904
	v_pk_mul_f32 v[62:63], v[4:5], v[62:63]                    // 0000000044F4: D3B1403E 18027D04
	v_pk_mul_f32 v[126:127], v[4:5], v[126:127]                // 0000000044FC: D3B1407E 1802FD04
	v_pk_mul_f32 v[76:77], v[4:5], v[76:77]                    // 000000004504: D3B1404C 18029904
	v_pk_mul_f32 v[140:141], v[4:5], v[140:141]                // 00000000450C: D3B1408C 18031904
	v_pk_mul_f32 v[78:79], v[4:5], v[78:79]                    // 000000004514: D3B1404E 18029D04
	v_pk_mul_f32 v[142:143], v[4:5], v[142:143]                // 00000000451C: D3B1408E 18031D04
	v_pk_mul_f32 v[92:93], v[4:5], v[92:93]                    // 000000004524: D3B1405C 1802B904
	v_pk_mul_f32 v[156:157], v[4:5], v[156:157]                // 00000000452C: D3B1409C 18033904
	v_pk_mul_f32 v[94:95], v[4:5], v[94:95]                    // 000000004534: D3B1405E 1802BD04
	v_pk_mul_f32 v[158:159], v[4:5], v[158:159]                // 00000000453C: D3B1409E 18033D04
	v_pk_mul_f32 v[108:109], v[4:5], v[108:109]                // 000000004544: D3B1406C 1802D904
	v_pk_mul_f32 v[172:173], v[4:5], v[172:173]                // 00000000454C: D3B140AC 18035904
	v_pk_mul_f32 v[110:111], v[4:5], v[110:111]                // 000000004554: D3B1406E 1802DD04
	v_pk_mul_f32 v[174:175], v[4:5], v[174:175]                // 00000000455C: D3B140AE 18035D04
	v_mul_f32_e32 v34, v34, v186                               // 000000004564: 0A457522
	v_mov_b32_e32 v4, v34                                      // 000000004568: 7E080322
	v_mov_b32_e32 v5, v4                                       // 00000000456C: 7E0A0304
	v_pk_mul_f32 v[64:65], v[4:5], v[64:65]                    // 000000004570: D3B14040 18028104
	v_pk_mul_f32 v[128:129], v[4:5], v[128:129]                // 000000004578: D3B14080 18030104
	v_pk_mul_f32 v[66:67], v[4:5], v[66:67]                    // 000000004580: D3B14042 18028504
	v_pk_mul_f32 v[130:131], v[4:5], v[130:131]                // 000000004588: D3B14082 18030504
	v_pk_mul_f32 v[80:81], v[4:5], v[80:81]                    // 000000004590: D3B14050 1802A104
	v_pk_mul_f32 v[144:145], v[4:5], v[144:145]                // 000000004598: D3B14090 18032104
	v_pk_mul_f32 v[82:83], v[4:5], v[82:83]                    // 0000000045A0: D3B14052 1802A504
	v_pk_mul_f32 v[146:147], v[4:5], v[146:147]                // 0000000045A8: D3B14092 18032504
	v_pk_mul_f32 v[96:97], v[4:5], v[96:97]                    // 0000000045B0: D3B14060 1802C104
	v_pk_mul_f32 v[160:161], v[4:5], v[160:161]                // 0000000045B8: D3B140A0 18034104
	v_pk_mul_f32 v[98:99], v[4:5], v[98:99]                    // 0000000045C0: D3B14062 1802C504
	v_pk_mul_f32 v[162:163], v[4:5], v[162:163]                // 0000000045C8: D3B140A2 18034504
	v_pk_mul_f32 v[112:113], v[4:5], v[112:113]                // 0000000045D0: D3B14070 1802E104
	v_pk_mul_f32 v[176:177], v[4:5], v[176:177]                // 0000000045D8: D3B140B0 18036104
	v_pk_mul_f32 v[114:115], v[4:5], v[114:115]                // 0000000045E0: D3B14072 1802E504
	v_pk_mul_f32 v[178:179], v[4:5], v[178:179]                // 0000000045E8: D3B140B2 18036504
	v_mul_f32_e32 v35, v35, v187                               // 0000000045F0: 0A477723
	v_mov_b32_e32 v4, v35                                      // 0000000045F4: 7E080323
	v_mov_b32_e32 v5, v4                                       // 0000000045F8: 7E0A0304
	v_pk_mul_f32 v[68:69], v[4:5], v[68:69]                    // 0000000045FC: D3B14044 18028904
	v_pk_mul_f32 v[132:133], v[4:5], v[132:133]                // 000000004604: D3B14084 18030904
	v_pk_mul_f32 v[70:71], v[4:5], v[70:71]                    // 00000000460C: D3B14046 18028D04
	v_pk_mul_f32 v[134:135], v[4:5], v[134:135]                // 000000004614: D3B14086 18030D04
	v_pk_mul_f32 v[84:85], v[4:5], v[84:85]                    // 00000000461C: D3B14054 1802A904
	v_pk_mul_f32 v[148:149], v[4:5], v[148:149]                // 000000004624: D3B14094 18032904
	v_pk_mul_f32 v[86:87], v[4:5], v[86:87]                    // 00000000462C: D3B14056 1802AD04
	v_pk_mul_f32 v[150:151], v[4:5], v[150:151]                // 000000004634: D3B14096 18032D04
	v_pk_mul_f32 v[100:101], v[4:5], v[100:101]                // 00000000463C: D3B14064 1802C904
	v_pk_mul_f32 v[164:165], v[4:5], v[164:165]                // 000000004644: D3B140A4 18034904
	v_pk_mul_f32 v[102:103], v[4:5], v[102:103]                // 00000000464C: D3B14066 1802CD04
	v_pk_mul_f32 v[166:167], v[4:5], v[166:167]                // 000000004654: D3B140A6 18034D04
	v_pk_mul_f32 v[116:117], v[4:5], v[116:117]                // 00000000465C: D3B14074 1802E904
	v_pk_mul_f32 v[180:181], v[4:5], v[180:181]                // 000000004664: D3B140B4 18036904
	v_pk_mul_f32 v[118:119], v[4:5], v[118:119]                // 00000000466C: D3B14076 1802ED04
	v_pk_mul_f32 v[182:183], v[4:5], v[182:183]                // 000000004674: D3B140B6 18036D04
	s_cmp_eq_u32 s88, 0                                        // 00000000467C: BF068058
	s_cbranch_scc0 label_0F52                                  // 000000004680: BF840831
	s_cmp_eq_u32 s89, 0                                        // 000000004684: BF068059
	s_cbranch_scc1 label_09A8                                  // 000000004688: BF850285
	v_mov_b32_e32 v8, v1                                       // 00000000468C: 7E100301
	v_mov_b32_e32 v9, v1                                       // 000000004690: 7E120301
	s_mov_b32 s60, s6                                          // 000000004694: BEBC0006
	s_mov_b32 s61, s6                                          // 000000004698: BEBD0006
	v_pk_mul_f32 v[4:5], v[56:57], v[56:57]                    // 00000000469C: D3B14004 18027138
	v_pk_mul_f32 v[6:7], v[58:59], v[58:59]                    // 0000000046A4: D3B14006 1802753A
	v_pk_fma_f32 v[4:5], v[4:5], s[78:79], v[8:9]              // 0000000046AC: D3B04004 1C209D04
	v_pk_fma_f32 v[6:7], v[6:7], s[78:79], v[8:9]              // 0000000046B4: D3B04006 1C209D06
	v_pk_mul_f32 v[4:5], v[4:5], v[56:57]                      // 0000000046BC: D3B14004 18027104
	v_pk_mul_f32 v[6:7], v[6:7], v[58:59]                      // 0000000046C4: D3B14006 18027506
	v_pk_mul_f32 v[4:5], v[4:5], s[60:61]                      // 0000000046CC: D3B14004 18007904
	v_pk_mul_f32 v[6:7], v[6:7], s[60:61]                      // 0000000046D4: D3B14006 18007906
	v_exp_f32_e32 v4, v4                                       // 0000000046DC: 7E084104
	v_exp_f32_e32 v5, v5                                       // 0000000046E0: 7E0A4105
	v_exp_f32_e32 v6, v6                                       // 0000000046E4: 7E0C4106
	v_exp_f32_e32 v7, v7                                       // 0000000046E8: 7E0E4107
	v_add_f32_e64 v4, v4, 1.0                                  // 0000000046EC: D1010004 0001E504
	v_add_f32_e64 v5, v5, 1.0                                  // 0000000046F4: D1010005 0001E505
	v_add_f32_e64 v6, v6, 1.0                                  // 0000000046FC: D1010006 0001E506
	v_add_f32_e64 v7, v7, 1.0                                  // 000000004704: D1010007 0001E507
	v_rcp_f32_e32 v4, v4                                       // 00000000470C: 7E084504
	v_rcp_f32_e32 v5, v5                                       // 000000004710: 7E0A4505
	v_rcp_f32_e32 v6, v6                                       // 000000004714: 7E0C4506
	v_rcp_f32_e32 v7, v7                                       // 000000004718: 7E0E4507
	v_mul_f32_e32 v56, v56, v4                                 // 00000000471C: 0A700938
	v_mul_f32_e32 v57, v57, v5                                 // 000000004720: 0A720B39
	v_mul_f32_e32 v58, v58, v6                                 // 000000004724: 0A740D3A
	v_mul_f32_e32 v59, v59, v7                                 // 000000004728: 0A760F3B
	v_mul_f32_e32 v56, v56, v120                               // 00000000472C: 0A70F138
	v_mul_f32_e32 v57, v57, v121                               // 000000004730: 0A72F339
	v_mul_f32_e32 v58, v58, v122                               // 000000004734: 0A74F53A
	v_mul_f32_e32 v59, v59, v123                               // 000000004738: 0A76F73B
	v_pk_mul_f32 v[4:5], v[60:61], v[60:61]                    // 00000000473C: D3B14004 1802793C
	v_pk_mul_f32 v[6:7], v[62:63], v[62:63]                    // 000000004744: D3B14006 18027D3E
	v_pk_fma_f32 v[4:5], v[4:5], s[78:79], v[8:9]              // 00000000474C: D3B04004 1C209D04
	v_pk_fma_f32 v[6:7], v[6:7], s[78:79], v[8:9]              // 000000004754: D3B04006 1C209D06
	v_pk_mul_f32 v[4:5], v[4:5], v[60:61]                      // 00000000475C: D3B14004 18027904
	v_pk_mul_f32 v[6:7], v[6:7], v[62:63]                      // 000000004764: D3B14006 18027D06
	v_pk_mul_f32 v[4:5], v[4:5], s[60:61]                      // 00000000476C: D3B14004 18007904
	v_pk_mul_f32 v[6:7], v[6:7], s[60:61]                      // 000000004774: D3B14006 18007906
	v_exp_f32_e32 v4, v4                                       // 00000000477C: 7E084104
	v_exp_f32_e32 v5, v5                                       // 000000004780: 7E0A4105
	v_exp_f32_e32 v6, v6                                       // 000000004784: 7E0C4106
	v_exp_f32_e32 v7, v7                                       // 000000004788: 7E0E4107
	v_add_f32_e64 v4, v4, 1.0                                  // 00000000478C: D1010004 0001E504
	v_add_f32_e64 v5, v5, 1.0                                  // 000000004794: D1010005 0001E505
	v_add_f32_e64 v6, v6, 1.0                                  // 00000000479C: D1010006 0001E506
	v_add_f32_e64 v7, v7, 1.0                                  // 0000000047A4: D1010007 0001E507
	v_rcp_f32_e32 v4, v4                                       // 0000000047AC: 7E084504
	v_rcp_f32_e32 v5, v5                                       // 0000000047B0: 7E0A4505
	v_rcp_f32_e32 v6, v6                                       // 0000000047B4: 7E0C4506
	v_rcp_f32_e32 v7, v7                                       // 0000000047B8: 7E0E4507
	v_mul_f32_e32 v60, v60, v4                                 // 0000000047BC: 0A78093C
	v_mul_f32_e32 v61, v61, v5                                 // 0000000047C0: 0A7A0B3D
	v_mul_f32_e32 v62, v62, v6                                 // 0000000047C4: 0A7C0D3E
	v_mul_f32_e32 v63, v63, v7                                 // 0000000047C8: 0A7E0F3F
	v_mul_f32_e32 v60, v60, v124                               // 0000000047CC: 0A78F93C
	v_mul_f32_e32 v61, v61, v125                               // 0000000047D0: 0A7AFB3D
	v_mul_f32_e32 v62, v62, v126                               // 0000000047D4: 0A7CFD3E
	v_mul_f32_e32 v63, v63, v127                               // 0000000047D8: 0A7EFF3F
	v_pk_mul_f32 v[4:5], v[64:65], v[64:65]                    // 0000000047DC: D3B14004 18028140
	v_pk_mul_f32 v[6:7], v[66:67], v[66:67]                    // 0000000047E4: D3B14006 18028542
	v_pk_fma_f32 v[4:5], v[4:5], s[78:79], v[8:9]              // 0000000047EC: D3B04004 1C209D04
	v_pk_fma_f32 v[6:7], v[6:7], s[78:79], v[8:9]              // 0000000047F4: D3B04006 1C209D06
	v_pk_mul_f32 v[4:5], v[4:5], v[64:65]                      // 0000000047FC: D3B14004 18028104
	v_pk_mul_f32 v[6:7], v[6:7], v[66:67]                      // 000000004804: D3B14006 18028506
	v_pk_mul_f32 v[4:5], v[4:5], s[60:61]                      // 00000000480C: D3B14004 18007904
	v_pk_mul_f32 v[6:7], v[6:7], s[60:61]                      // 000000004814: D3B14006 18007906
	v_exp_f32_e32 v4, v4                                       // 00000000481C: 7E084104
	v_exp_f32_e32 v5, v5                                       // 000000004820: 7E0A4105
	v_exp_f32_e32 v6, v6                                       // 000000004824: 7E0C4106
	v_exp_f32_e32 v7, v7                                       // 000000004828: 7E0E4107
	v_add_f32_e64 v4, v4, 1.0                                  // 00000000482C: D1010004 0001E504
	v_add_f32_e64 v5, v5, 1.0                                  // 000000004834: D1010005 0001E505
	v_add_f32_e64 v6, v6, 1.0                                  // 00000000483C: D1010006 0001E506
	v_add_f32_e64 v7, v7, 1.0                                  // 000000004844: D1010007 0001E507
	v_rcp_f32_e32 v4, v4                                       // 00000000484C: 7E084504
	v_rcp_f32_e32 v5, v5                                       // 000000004850: 7E0A4505
	v_rcp_f32_e32 v6, v6                                       // 000000004854: 7E0C4506
	v_rcp_f32_e32 v7, v7                                       // 000000004858: 7E0E4507
	v_mul_f32_e32 v64, v64, v4                                 // 00000000485C: 0A800940
	v_mul_f32_e32 v65, v65, v5                                 // 000000004860: 0A820B41
	v_mul_f32_e32 v66, v66, v6                                 // 000000004864: 0A840D42
	v_mul_f32_e32 v67, v67, v7                                 // 000000004868: 0A860F43
	v_mul_f32_e32 v64, v64, v128                               // 00000000486C: 0A810140
	v_mul_f32_e32 v65, v65, v129                               // 000000004870: 0A830341
	v_mul_f32_e32 v66, v66, v130                               // 000000004874: 0A850542
	v_mul_f32_e32 v67, v67, v131                               // 000000004878: 0A870743
	v_pk_mul_f32 v[4:5], v[68:69], v[68:69]                    // 00000000487C: D3B14004 18028944
	v_pk_mul_f32 v[6:7], v[70:71], v[70:71]                    // 000000004884: D3B14006 18028D46
	v_pk_fma_f32 v[4:5], v[4:5], s[78:79], v[8:9]              // 00000000488C: D3B04004 1C209D04
	v_pk_fma_f32 v[6:7], v[6:7], s[78:79], v[8:9]              // 000000004894: D3B04006 1C209D06
	v_pk_mul_f32 v[4:5], v[4:5], v[68:69]                      // 00000000489C: D3B14004 18028904
	v_pk_mul_f32 v[6:7], v[6:7], v[70:71]                      // 0000000048A4: D3B14006 18028D06
	v_pk_mul_f32 v[4:5], v[4:5], s[60:61]                      // 0000000048AC: D3B14004 18007904
	v_pk_mul_f32 v[6:7], v[6:7], s[60:61]                      // 0000000048B4: D3B14006 18007906
	v_exp_f32_e32 v4, v4                                       // 0000000048BC: 7E084104
	v_exp_f32_e32 v5, v5                                       // 0000000048C0: 7E0A4105
	v_exp_f32_e32 v6, v6                                       // 0000000048C4: 7E0C4106
	v_exp_f32_e32 v7, v7                                       // 0000000048C8: 7E0E4107
	v_add_f32_e64 v4, v4, 1.0                                  // 0000000048CC: D1010004 0001E504
	v_add_f32_e64 v5, v5, 1.0                                  // 0000000048D4: D1010005 0001E505
	v_add_f32_e64 v6, v6, 1.0                                  // 0000000048DC: D1010006 0001E506
	v_add_f32_e64 v7, v7, 1.0                                  // 0000000048E4: D1010007 0001E507
	v_rcp_f32_e32 v4, v4                                       // 0000000048EC: 7E084504
	v_rcp_f32_e32 v5, v5                                       // 0000000048F0: 7E0A4505
	v_rcp_f32_e32 v6, v6                                       // 0000000048F4: 7E0C4506
	v_rcp_f32_e32 v7, v7                                       // 0000000048F8: 7E0E4507
	v_mul_f32_e32 v68, v68, v4                                 // 0000000048FC: 0A880944
	v_mul_f32_e32 v69, v69, v5                                 // 000000004900: 0A8A0B45
	v_mul_f32_e32 v70, v70, v6                                 // 000000004904: 0A8C0D46
	v_mul_f32_e32 v71, v71, v7                                 // 000000004908: 0A8E0F47
	v_mul_f32_e32 v68, v68, v132                               // 00000000490C: 0A890944
	v_mul_f32_e32 v69, v69, v133                               // 000000004910: 0A8B0B45
	v_mul_f32_e32 v70, v70, v134                               // 000000004914: 0A8D0D46
	v_mul_f32_e32 v71, v71, v135                               // 000000004918: 0A8F0F47
	v_pk_mul_f32 v[4:5], v[72:73], v[72:73]                    // 00000000491C: D3B14004 18029148
	v_pk_mul_f32 v[6:7], v[74:75], v[74:75]                    // 000000004924: D3B14006 1802954A
	v_pk_fma_f32 v[4:5], v[4:5], s[78:79], v[8:9]              // 00000000492C: D3B04004 1C209D04
	v_pk_fma_f32 v[6:7], v[6:7], s[78:79], v[8:9]              // 000000004934: D3B04006 1C209D06
	v_pk_mul_f32 v[4:5], v[4:5], v[72:73]                      // 00000000493C: D3B14004 18029104
	v_pk_mul_f32 v[6:7], v[6:7], v[74:75]                      // 000000004944: D3B14006 18029506
	v_pk_mul_f32 v[4:5], v[4:5], s[60:61]                      // 00000000494C: D3B14004 18007904
	v_pk_mul_f32 v[6:7], v[6:7], s[60:61]                      // 000000004954: D3B14006 18007906
	v_exp_f32_e32 v4, v4                                       // 00000000495C: 7E084104
	v_exp_f32_e32 v5, v5                                       // 000000004960: 7E0A4105
	v_exp_f32_e32 v6, v6                                       // 000000004964: 7E0C4106
	v_exp_f32_e32 v7, v7                                       // 000000004968: 7E0E4107
	v_add_f32_e64 v4, v4, 1.0                                  // 00000000496C: D1010004 0001E504
	v_add_f32_e64 v5, v5, 1.0                                  // 000000004974: D1010005 0001E505
	v_add_f32_e64 v6, v6, 1.0                                  // 00000000497C: D1010006 0001E506
	v_add_f32_e64 v7, v7, 1.0                                  // 000000004984: D1010007 0001E507
	v_rcp_f32_e32 v4, v4                                       // 00000000498C: 7E084504
	v_rcp_f32_e32 v5, v5                                       // 000000004990: 7E0A4505
	v_rcp_f32_e32 v6, v6                                       // 000000004994: 7E0C4506
	v_rcp_f32_e32 v7, v7                                       // 000000004998: 7E0E4507
	v_mul_f32_e32 v72, v72, v4                                 // 00000000499C: 0A900948
	v_mul_f32_e32 v73, v73, v5                                 // 0000000049A0: 0A920B49
	v_mul_f32_e32 v74, v74, v6                                 // 0000000049A4: 0A940D4A
	v_mul_f32_e32 v75, v75, v7                                 // 0000000049A8: 0A960F4B
	v_mul_f32_e32 v72, v72, v136                               // 0000000049AC: 0A911148
	v_mul_f32_e32 v73, v73, v137                               // 0000000049B0: 0A931349
	v_mul_f32_e32 v74, v74, v138                               // 0000000049B4: 0A95154A
	v_mul_f32_e32 v75, v75, v139                               // 0000000049B8: 0A97174B
	v_pk_mul_f32 v[4:5], v[76:77], v[76:77]                    // 0000000049BC: D3B14004 1802994C
	v_pk_mul_f32 v[6:7], v[78:79], v[78:79]                    // 0000000049C4: D3B14006 18029D4E
	v_pk_fma_f32 v[4:5], v[4:5], s[78:79], v[8:9]              // 0000000049CC: D3B04004 1C209D04
	v_pk_fma_f32 v[6:7], v[6:7], s[78:79], v[8:9]              // 0000000049D4: D3B04006 1C209D06
	v_pk_mul_f32 v[4:5], v[4:5], v[76:77]                      // 0000000049DC: D3B14004 18029904
	v_pk_mul_f32 v[6:7], v[6:7], v[78:79]                      // 0000000049E4: D3B14006 18029D06
	v_pk_mul_f32 v[4:5], v[4:5], s[60:61]                      // 0000000049EC: D3B14004 18007904
	v_pk_mul_f32 v[6:7], v[6:7], s[60:61]                      // 0000000049F4: D3B14006 18007906
	v_exp_f32_e32 v4, v4                                       // 0000000049FC: 7E084104
	v_exp_f32_e32 v5, v5                                       // 000000004A00: 7E0A4105
	v_exp_f32_e32 v6, v6                                       // 000000004A04: 7E0C4106
	v_exp_f32_e32 v7, v7                                       // 000000004A08: 7E0E4107
	v_add_f32_e64 v4, v4, 1.0                                  // 000000004A0C: D1010004 0001E504
	v_add_f32_e64 v5, v5, 1.0                                  // 000000004A14: D1010005 0001E505
	v_add_f32_e64 v6, v6, 1.0                                  // 000000004A1C: D1010006 0001E506
	v_add_f32_e64 v7, v7, 1.0                                  // 000000004A24: D1010007 0001E507
	v_rcp_f32_e32 v4, v4                                       // 000000004A2C: 7E084504
	v_rcp_f32_e32 v5, v5                                       // 000000004A30: 7E0A4505
	v_rcp_f32_e32 v6, v6                                       // 000000004A34: 7E0C4506
	v_rcp_f32_e32 v7, v7                                       // 000000004A38: 7E0E4507
	v_mul_f32_e32 v76, v76, v4                                 // 000000004A3C: 0A98094C
	v_mul_f32_e32 v77, v77, v5                                 // 000000004A40: 0A9A0B4D
	v_mul_f32_e32 v78, v78, v6                                 // 000000004A44: 0A9C0D4E
	v_mul_f32_e32 v79, v79, v7                                 // 000000004A48: 0A9E0F4F
	v_mul_f32_e32 v76, v76, v140                               // 000000004A4C: 0A99194C
	v_mul_f32_e32 v77, v77, v141                               // 000000004A50: 0A9B1B4D
	v_mul_f32_e32 v78, v78, v142                               // 000000004A54: 0A9D1D4E
	v_mul_f32_e32 v79, v79, v143                               // 000000004A58: 0A9F1F4F
	v_pk_mul_f32 v[4:5], v[80:81], v[80:81]                    // 000000004A5C: D3B14004 1802A150
	v_pk_mul_f32 v[6:7], v[82:83], v[82:83]                    // 000000004A64: D3B14006 1802A552
	v_pk_fma_f32 v[4:5], v[4:5], s[78:79], v[8:9]              // 000000004A6C: D3B04004 1C209D04
	v_pk_fma_f32 v[6:7], v[6:7], s[78:79], v[8:9]              // 000000004A74: D3B04006 1C209D06
	v_pk_mul_f32 v[4:5], v[4:5], v[80:81]                      // 000000004A7C: D3B14004 1802A104
	v_pk_mul_f32 v[6:7], v[6:7], v[82:83]                      // 000000004A84: D3B14006 1802A506
	v_pk_mul_f32 v[4:5], v[4:5], s[60:61]                      // 000000004A8C: D3B14004 18007904
	v_pk_mul_f32 v[6:7], v[6:7], s[60:61]                      // 000000004A94: D3B14006 18007906
	v_exp_f32_e32 v4, v4                                       // 000000004A9C: 7E084104
	v_exp_f32_e32 v5, v5                                       // 000000004AA0: 7E0A4105
	v_exp_f32_e32 v6, v6                                       // 000000004AA4: 7E0C4106
	v_exp_f32_e32 v7, v7                                       // 000000004AA8: 7E0E4107
	v_add_f32_e64 v4, v4, 1.0                                  // 000000004AAC: D1010004 0001E504
	v_add_f32_e64 v5, v5, 1.0                                  // 000000004AB4: D1010005 0001E505
	v_add_f32_e64 v6, v6, 1.0                                  // 000000004ABC: D1010006 0001E506
	v_add_f32_e64 v7, v7, 1.0                                  // 000000004AC4: D1010007 0001E507
	v_rcp_f32_e32 v4, v4                                       // 000000004ACC: 7E084504
	v_rcp_f32_e32 v5, v5                                       // 000000004AD0: 7E0A4505
	v_rcp_f32_e32 v6, v6                                       // 000000004AD4: 7E0C4506
	v_rcp_f32_e32 v7, v7                                       // 000000004AD8: 7E0E4507
	v_mul_f32_e32 v80, v80, v4                                 // 000000004ADC: 0AA00950
	v_mul_f32_e32 v81, v81, v5                                 // 000000004AE0: 0AA20B51
	v_mul_f32_e32 v82, v82, v6                                 // 000000004AE4: 0AA40D52
	v_mul_f32_e32 v83, v83, v7                                 // 000000004AE8: 0AA60F53
	v_mul_f32_e32 v80, v80, v144                               // 000000004AEC: 0AA12150
	v_mul_f32_e32 v81, v81, v145                               // 000000004AF0: 0AA32351
	v_mul_f32_e32 v82, v82, v146                               // 000000004AF4: 0AA52552
	v_mul_f32_e32 v83, v83, v147                               // 000000004AF8: 0AA72753
	v_pk_mul_f32 v[4:5], v[84:85], v[84:85]                    // 000000004AFC: D3B14004 1802A954
	v_pk_mul_f32 v[6:7], v[86:87], v[86:87]                    // 000000004B04: D3B14006 1802AD56
	v_pk_fma_f32 v[4:5], v[4:5], s[78:79], v[8:9]              // 000000004B0C: D3B04004 1C209D04
	v_pk_fma_f32 v[6:7], v[6:7], s[78:79], v[8:9]              // 000000004B14: D3B04006 1C209D06
	v_pk_mul_f32 v[4:5], v[4:5], v[84:85]                      // 000000004B1C: D3B14004 1802A904
	v_pk_mul_f32 v[6:7], v[6:7], v[86:87]                      // 000000004B24: D3B14006 1802AD06
	v_pk_mul_f32 v[4:5], v[4:5], s[60:61]                      // 000000004B2C: D3B14004 18007904
	v_pk_mul_f32 v[6:7], v[6:7], s[60:61]                      // 000000004B34: D3B14006 18007906
	v_exp_f32_e32 v4, v4                                       // 000000004B3C: 7E084104
	v_exp_f32_e32 v5, v5                                       // 000000004B40: 7E0A4105
	v_exp_f32_e32 v6, v6                                       // 000000004B44: 7E0C4106
	v_exp_f32_e32 v7, v7                                       // 000000004B48: 7E0E4107
	v_add_f32_e64 v4, v4, 1.0                                  // 000000004B4C: D1010004 0001E504
	v_add_f32_e64 v5, v5, 1.0                                  // 000000004B54: D1010005 0001E505
	v_add_f32_e64 v6, v6, 1.0                                  // 000000004B5C: D1010006 0001E506
	v_add_f32_e64 v7, v7, 1.0                                  // 000000004B64: D1010007 0001E507
	v_rcp_f32_e32 v4, v4                                       // 000000004B6C: 7E084504
	v_rcp_f32_e32 v5, v5                                       // 000000004B70: 7E0A4505
	v_rcp_f32_e32 v6, v6                                       // 000000004B74: 7E0C4506
	v_rcp_f32_e32 v7, v7                                       // 000000004B78: 7E0E4507
	v_mul_f32_e32 v84, v84, v4                                 // 000000004B7C: 0AA80954
	v_mul_f32_e32 v85, v85, v5                                 // 000000004B80: 0AAA0B55
	v_mul_f32_e32 v86, v86, v6                                 // 000000004B84: 0AAC0D56
	v_mul_f32_e32 v87, v87, v7                                 // 000000004B88: 0AAE0F57
	v_mul_f32_e32 v84, v84, v148                               // 000000004B8C: 0AA92954
	v_mul_f32_e32 v85, v85, v149                               // 000000004B90: 0AAB2B55
	v_mul_f32_e32 v86, v86, v150                               // 000000004B94: 0AAD2D56
	v_mul_f32_e32 v87, v87, v151                               // 000000004B98: 0AAF2F57
	v_pk_mul_f32 v[4:5], v[88:89], v[88:89]                    // 000000004B9C: D3B14004 1802B158
	v_pk_mul_f32 v[6:7], v[90:91], v[90:91]                    // 000000004BA4: D3B14006 1802B55A
	v_pk_fma_f32 v[4:5], v[4:5], s[78:79], v[8:9]              // 000000004BAC: D3B04004 1C209D04
	v_pk_fma_f32 v[6:7], v[6:7], s[78:79], v[8:9]              // 000000004BB4: D3B04006 1C209D06
	v_pk_mul_f32 v[4:5], v[4:5], v[88:89]                      // 000000004BBC: D3B14004 1802B104
	v_pk_mul_f32 v[6:7], v[6:7], v[90:91]                      // 000000004BC4: D3B14006 1802B506
	v_pk_mul_f32 v[4:5], v[4:5], s[60:61]                      // 000000004BCC: D3B14004 18007904
	v_pk_mul_f32 v[6:7], v[6:7], s[60:61]                      // 000000004BD4: D3B14006 18007906
	v_exp_f32_e32 v4, v4                                       // 000000004BDC: 7E084104
	v_exp_f32_e32 v5, v5                                       // 000000004BE0: 7E0A4105
	v_exp_f32_e32 v6, v6                                       // 000000004BE4: 7E0C4106
	v_exp_f32_e32 v7, v7                                       // 000000004BE8: 7E0E4107
	v_add_f32_e64 v4, v4, 1.0                                  // 000000004BEC: D1010004 0001E504
	v_add_f32_e64 v5, v5, 1.0                                  // 000000004BF4: D1010005 0001E505
	v_add_f32_e64 v6, v6, 1.0                                  // 000000004BFC: D1010006 0001E506
	v_add_f32_e64 v7, v7, 1.0                                  // 000000004C04: D1010007 0001E507
	v_rcp_f32_e32 v4, v4                                       // 000000004C0C: 7E084504
	v_rcp_f32_e32 v5, v5                                       // 000000004C10: 7E0A4505
	v_rcp_f32_e32 v6, v6                                       // 000000004C14: 7E0C4506
	v_rcp_f32_e32 v7, v7                                       // 000000004C18: 7E0E4507
	v_mul_f32_e32 v88, v88, v4                                 // 000000004C1C: 0AB00958
	v_mul_f32_e32 v89, v89, v5                                 // 000000004C20: 0AB20B59
	v_mul_f32_e32 v90, v90, v6                                 // 000000004C24: 0AB40D5A
	v_mul_f32_e32 v91, v91, v7                                 // 000000004C28: 0AB60F5B
	v_mul_f32_e32 v88, v88, v152                               // 000000004C2C: 0AB13158
	v_mul_f32_e32 v89, v89, v153                               // 000000004C30: 0AB33359
	v_mul_f32_e32 v90, v90, v154                               // 000000004C34: 0AB5355A
	v_mul_f32_e32 v91, v91, v155                               // 000000004C38: 0AB7375B
	v_pk_mul_f32 v[4:5], v[92:93], v[92:93]                    // 000000004C3C: D3B14004 1802B95C
	v_pk_mul_f32 v[6:7], v[94:95], v[94:95]                    // 000000004C44: D3B14006 1802BD5E
	v_pk_fma_f32 v[4:5], v[4:5], s[78:79], v[8:9]              // 000000004C4C: D3B04004 1C209D04
	v_pk_fma_f32 v[6:7], v[6:7], s[78:79], v[8:9]              // 000000004C54: D3B04006 1C209D06
	v_pk_mul_f32 v[4:5], v[4:5], v[92:93]                      // 000000004C5C: D3B14004 1802B904
	v_pk_mul_f32 v[6:7], v[6:7], v[94:95]                      // 000000004C64: D3B14006 1802BD06
	v_pk_mul_f32 v[4:5], v[4:5], s[60:61]                      // 000000004C6C: D3B14004 18007904
	v_pk_mul_f32 v[6:7], v[6:7], s[60:61]                      // 000000004C74: D3B14006 18007906
	v_exp_f32_e32 v4, v4                                       // 000000004C7C: 7E084104
	v_exp_f32_e32 v5, v5                                       // 000000004C80: 7E0A4105
	v_exp_f32_e32 v6, v6                                       // 000000004C84: 7E0C4106
	v_exp_f32_e32 v7, v7                                       // 000000004C88: 7E0E4107
	v_add_f32_e64 v4, v4, 1.0                                  // 000000004C8C: D1010004 0001E504
	v_add_f32_e64 v5, v5, 1.0                                  // 000000004C94: D1010005 0001E505
	v_add_f32_e64 v6, v6, 1.0                                  // 000000004C9C: D1010006 0001E506
	v_add_f32_e64 v7, v7, 1.0                                  // 000000004CA4: D1010007 0001E507
	v_rcp_f32_e32 v4, v4                                       // 000000004CAC: 7E084504
	v_rcp_f32_e32 v5, v5                                       // 000000004CB0: 7E0A4505
	v_rcp_f32_e32 v6, v6                                       // 000000004CB4: 7E0C4506
	v_rcp_f32_e32 v7, v7                                       // 000000004CB8: 7E0E4507
	v_mul_f32_e32 v92, v92, v4                                 // 000000004CBC: 0AB8095C
	v_mul_f32_e32 v93, v93, v5                                 // 000000004CC0: 0ABA0B5D
	v_mul_f32_e32 v94, v94, v6                                 // 000000004CC4: 0ABC0D5E
	v_mul_f32_e32 v95, v95, v7                                 // 000000004CC8: 0ABE0F5F
	v_mul_f32_e32 v92, v92, v156                               // 000000004CCC: 0AB9395C
	v_mul_f32_e32 v93, v93, v157                               // 000000004CD0: 0ABB3B5D
	v_mul_f32_e32 v94, v94, v158                               // 000000004CD4: 0ABD3D5E
	v_mul_f32_e32 v95, v95, v159                               // 000000004CD8: 0ABF3F5F
	v_pk_mul_f32 v[4:5], v[96:97], v[96:97]                    // 000000004CDC: D3B14004 1802C160
	v_pk_mul_f32 v[6:7], v[98:99], v[98:99]                    // 000000004CE4: D3B14006 1802C562
	v_pk_fma_f32 v[4:5], v[4:5], s[78:79], v[8:9]              // 000000004CEC: D3B04004 1C209D04
	v_pk_fma_f32 v[6:7], v[6:7], s[78:79], v[8:9]              // 000000004CF4: D3B04006 1C209D06
	v_pk_mul_f32 v[4:5], v[4:5], v[96:97]                      // 000000004CFC: D3B14004 1802C104
	v_pk_mul_f32 v[6:7], v[6:7], v[98:99]                      // 000000004D04: D3B14006 1802C506
	v_pk_mul_f32 v[4:5], v[4:5], s[60:61]                      // 000000004D0C: D3B14004 18007904
	v_pk_mul_f32 v[6:7], v[6:7], s[60:61]                      // 000000004D14: D3B14006 18007906
	v_exp_f32_e32 v4, v4                                       // 000000004D1C: 7E084104
	v_exp_f32_e32 v5, v5                                       // 000000004D20: 7E0A4105
	v_exp_f32_e32 v6, v6                                       // 000000004D24: 7E0C4106
	v_exp_f32_e32 v7, v7                                       // 000000004D28: 7E0E4107
	v_add_f32_e64 v4, v4, 1.0                                  // 000000004D2C: D1010004 0001E504
	v_add_f32_e64 v5, v5, 1.0                                  // 000000004D34: D1010005 0001E505
	v_add_f32_e64 v6, v6, 1.0                                  // 000000004D3C: D1010006 0001E506
	v_add_f32_e64 v7, v7, 1.0                                  // 000000004D44: D1010007 0001E507
	v_rcp_f32_e32 v4, v4                                       // 000000004D4C: 7E084504
	v_rcp_f32_e32 v5, v5                                       // 000000004D50: 7E0A4505
	v_rcp_f32_e32 v6, v6                                       // 000000004D54: 7E0C4506
	v_rcp_f32_e32 v7, v7                                       // 000000004D58: 7E0E4507
	v_mul_f32_e32 v96, v96, v4                                 // 000000004D5C: 0AC00960
	v_mul_f32_e32 v97, v97, v5                                 // 000000004D60: 0AC20B61
	v_mul_f32_e32 v98, v98, v6                                 // 000000004D64: 0AC40D62
	v_mul_f32_e32 v99, v99, v7                                 // 000000004D68: 0AC60F63
	v_mul_f32_e32 v96, v96, v160                               // 000000004D6C: 0AC14160
	v_mul_f32_e32 v97, v97, v161                               // 000000004D70: 0AC34361
	v_mul_f32_e32 v98, v98, v162                               // 000000004D74: 0AC54562
	v_mul_f32_e32 v99, v99, v163                               // 000000004D78: 0AC74763
	v_pk_mul_f32 v[4:5], v[100:101], v[100:101]                // 000000004D7C: D3B14004 1802C964
	v_pk_mul_f32 v[6:7], v[102:103], v[102:103]                // 000000004D84: D3B14006 1802CD66
	v_pk_fma_f32 v[4:5], v[4:5], s[78:79], v[8:9]              // 000000004D8C: D3B04004 1C209D04
	v_pk_fma_f32 v[6:7], v[6:7], s[78:79], v[8:9]              // 000000004D94: D3B04006 1C209D06
	v_pk_mul_f32 v[4:5], v[4:5], v[100:101]                    // 000000004D9C: D3B14004 1802C904
	v_pk_mul_f32 v[6:7], v[6:7], v[102:103]                    // 000000004DA4: D3B14006 1802CD06
	v_pk_mul_f32 v[4:5], v[4:5], s[60:61]                      // 000000004DAC: D3B14004 18007904
	v_pk_mul_f32 v[6:7], v[6:7], s[60:61]                      // 000000004DB4: D3B14006 18007906
	v_exp_f32_e32 v4, v4                                       // 000000004DBC: 7E084104
	v_exp_f32_e32 v5, v5                                       // 000000004DC0: 7E0A4105
	v_exp_f32_e32 v6, v6                                       // 000000004DC4: 7E0C4106
	v_exp_f32_e32 v7, v7                                       // 000000004DC8: 7E0E4107
	v_add_f32_e64 v4, v4, 1.0                                  // 000000004DCC: D1010004 0001E504
	v_add_f32_e64 v5, v5, 1.0                                  // 000000004DD4: D1010005 0001E505
	v_add_f32_e64 v6, v6, 1.0                                  // 000000004DDC: D1010006 0001E506
	v_add_f32_e64 v7, v7, 1.0                                  // 000000004DE4: D1010007 0001E507
	v_rcp_f32_e32 v4, v4                                       // 000000004DEC: 7E084504
	v_rcp_f32_e32 v5, v5                                       // 000000004DF0: 7E0A4505
	v_rcp_f32_e32 v6, v6                                       // 000000004DF4: 7E0C4506
	v_rcp_f32_e32 v7, v7                                       // 000000004DF8: 7E0E4507
	v_mul_f32_e32 v100, v100, v4                               // 000000004DFC: 0AC80964
	v_mul_f32_e32 v101, v101, v5                               // 000000004E00: 0ACA0B65
	v_mul_f32_e32 v102, v102, v6                               // 000000004E04: 0ACC0D66
	v_mul_f32_e32 v103, v103, v7                               // 000000004E08: 0ACE0F67
	v_mul_f32_e32 v100, v100, v164                             // 000000004E0C: 0AC94964
	v_mul_f32_e32 v101, v101, v165                             // 000000004E10: 0ACB4B65
	v_mul_f32_e32 v102, v102, v166                             // 000000004E14: 0ACD4D66
	v_mul_f32_e32 v103, v103, v167                             // 000000004E18: 0ACF4F67
	v_pk_mul_f32 v[4:5], v[104:105], v[104:105]                // 000000004E1C: D3B14004 1802D168
	v_pk_mul_f32 v[6:7], v[106:107], v[106:107]                // 000000004E24: D3B14006 1802D56A
	v_pk_fma_f32 v[4:5], v[4:5], s[78:79], v[8:9]              // 000000004E2C: D3B04004 1C209D04
	v_pk_fma_f32 v[6:7], v[6:7], s[78:79], v[8:9]              // 000000004E34: D3B04006 1C209D06
	v_pk_mul_f32 v[4:5], v[4:5], v[104:105]                    // 000000004E3C: D3B14004 1802D104
	v_pk_mul_f32 v[6:7], v[6:7], v[106:107]                    // 000000004E44: D3B14006 1802D506
	v_pk_mul_f32 v[4:5], v[4:5], s[60:61]                      // 000000004E4C: D3B14004 18007904
	v_pk_mul_f32 v[6:7], v[6:7], s[60:61]                      // 000000004E54: D3B14006 18007906
	v_exp_f32_e32 v4, v4                                       // 000000004E5C: 7E084104
	v_exp_f32_e32 v5, v5                                       // 000000004E60: 7E0A4105
	v_exp_f32_e32 v6, v6                                       // 000000004E64: 7E0C4106
	v_exp_f32_e32 v7, v7                                       // 000000004E68: 7E0E4107
	v_add_f32_e64 v4, v4, 1.0                                  // 000000004E6C: D1010004 0001E504
	v_add_f32_e64 v5, v5, 1.0                                  // 000000004E74: D1010005 0001E505
	v_add_f32_e64 v6, v6, 1.0                                  // 000000004E7C: D1010006 0001E506
	v_add_f32_e64 v7, v7, 1.0                                  // 000000004E84: D1010007 0001E507
	v_rcp_f32_e32 v4, v4                                       // 000000004E8C: 7E084504
	v_rcp_f32_e32 v5, v5                                       // 000000004E90: 7E0A4505
	v_rcp_f32_e32 v6, v6                                       // 000000004E94: 7E0C4506
	v_rcp_f32_e32 v7, v7                                       // 000000004E98: 7E0E4507
	v_mul_f32_e32 v104, v104, v4                               // 000000004E9C: 0AD00968
	v_mul_f32_e32 v105, v105, v5                               // 000000004EA0: 0AD20B69
	v_mul_f32_e32 v106, v106, v6                               // 000000004EA4: 0AD40D6A
	v_mul_f32_e32 v107, v107, v7                               // 000000004EA8: 0AD60F6B
	v_mul_f32_e32 v104, v104, v168                             // 000000004EAC: 0AD15168
	v_mul_f32_e32 v105, v105, v169                             // 000000004EB0: 0AD35369
	v_mul_f32_e32 v106, v106, v170                             // 000000004EB4: 0AD5556A
	v_mul_f32_e32 v107, v107, v171                             // 000000004EB8: 0AD7576B
	v_pk_mul_f32 v[4:5], v[108:109], v[108:109]                // 000000004EBC: D3B14004 1802D96C
	v_pk_mul_f32 v[6:7], v[110:111], v[110:111]                // 000000004EC4: D3B14006 1802DD6E
	v_pk_fma_f32 v[4:5], v[4:5], s[78:79], v[8:9]              // 000000004ECC: D3B04004 1C209D04
	v_pk_fma_f32 v[6:7], v[6:7], s[78:79], v[8:9]              // 000000004ED4: D3B04006 1C209D06
	v_pk_mul_f32 v[4:5], v[4:5], v[108:109]                    // 000000004EDC: D3B14004 1802D904
	v_pk_mul_f32 v[6:7], v[6:7], v[110:111]                    // 000000004EE4: D3B14006 1802DD06
	v_pk_mul_f32 v[4:5], v[4:5], s[60:61]                      // 000000004EEC: D3B14004 18007904
	v_pk_mul_f32 v[6:7], v[6:7], s[60:61]                      // 000000004EF4: D3B14006 18007906
	v_exp_f32_e32 v4, v4                                       // 000000004EFC: 7E084104
	v_exp_f32_e32 v5, v5                                       // 000000004F00: 7E0A4105
	v_exp_f32_e32 v6, v6                                       // 000000004F04: 7E0C4106
	v_exp_f32_e32 v7, v7                                       // 000000004F08: 7E0E4107
	v_add_f32_e64 v4, v4, 1.0                                  // 000000004F0C: D1010004 0001E504
	v_add_f32_e64 v5, v5, 1.0                                  // 000000004F14: D1010005 0001E505
	v_add_f32_e64 v6, v6, 1.0                                  // 000000004F1C: D1010006 0001E506
	v_add_f32_e64 v7, v7, 1.0                                  // 000000004F24: D1010007 0001E507
	v_rcp_f32_e32 v4, v4                                       // 000000004F2C: 7E084504
	v_rcp_f32_e32 v5, v5                                       // 000000004F30: 7E0A4505
	v_rcp_f32_e32 v6, v6                                       // 000000004F34: 7E0C4506
	v_rcp_f32_e32 v7, v7                                       // 000000004F38: 7E0E4507
	v_mul_f32_e32 v108, v108, v4                               // 000000004F3C: 0AD8096C
	v_mul_f32_e32 v109, v109, v5                               // 000000004F40: 0ADA0B6D
	v_mul_f32_e32 v110, v110, v6                               // 000000004F44: 0ADC0D6E
	v_mul_f32_e32 v111, v111, v7                               // 000000004F48: 0ADE0F6F
	v_mul_f32_e32 v108, v108, v172                             // 000000004F4C: 0AD9596C
	v_mul_f32_e32 v109, v109, v173                             // 000000004F50: 0ADB5B6D
	v_mul_f32_e32 v110, v110, v174                             // 000000004F54: 0ADD5D6E
	v_mul_f32_e32 v111, v111, v175                             // 000000004F58: 0ADF5F6F
	v_pk_mul_f32 v[4:5], v[112:113], v[112:113]                // 000000004F5C: D3B14004 1802E170
	v_pk_mul_f32 v[6:7], v[114:115], v[114:115]                // 000000004F64: D3B14006 1802E572
	v_pk_fma_f32 v[4:5], v[4:5], s[78:79], v[8:9]              // 000000004F6C: D3B04004 1C209D04
	v_pk_fma_f32 v[6:7], v[6:7], s[78:79], v[8:9]              // 000000004F74: D3B04006 1C209D06
	v_pk_mul_f32 v[4:5], v[4:5], v[112:113]                    // 000000004F7C: D3B14004 1802E104
	v_pk_mul_f32 v[6:7], v[6:7], v[114:115]                    // 000000004F84: D3B14006 1802E506
	v_pk_mul_f32 v[4:5], v[4:5], s[60:61]                      // 000000004F8C: D3B14004 18007904
	v_pk_mul_f32 v[6:7], v[6:7], s[60:61]                      // 000000004F94: D3B14006 18007906
	v_exp_f32_e32 v4, v4                                       // 000000004F9C: 7E084104
	v_exp_f32_e32 v5, v5                                       // 000000004FA0: 7E0A4105
	v_exp_f32_e32 v6, v6                                       // 000000004FA4: 7E0C4106
	v_exp_f32_e32 v7, v7                                       // 000000004FA8: 7E0E4107
	v_add_f32_e64 v4, v4, 1.0                                  // 000000004FAC: D1010004 0001E504
	v_add_f32_e64 v5, v5, 1.0                                  // 000000004FB4: D1010005 0001E505
	v_add_f32_e64 v6, v6, 1.0                                  // 000000004FBC: D1010006 0001E506
	v_add_f32_e64 v7, v7, 1.0                                  // 000000004FC4: D1010007 0001E507
	v_rcp_f32_e32 v4, v4                                       // 000000004FCC: 7E084504
	v_rcp_f32_e32 v5, v5                                       // 000000004FD0: 7E0A4505
	v_rcp_f32_e32 v6, v6                                       // 000000004FD4: 7E0C4506
	v_rcp_f32_e32 v7, v7                                       // 000000004FD8: 7E0E4507
	v_mul_f32_e32 v112, v112, v4                               // 000000004FDC: 0AE00970
	v_mul_f32_e32 v113, v113, v5                               // 000000004FE0: 0AE20B71
	v_mul_f32_e32 v114, v114, v6                               // 000000004FE4: 0AE40D72
	v_mul_f32_e32 v115, v115, v7                               // 000000004FE8: 0AE60F73
	v_mul_f32_e32 v112, v112, v176                             // 000000004FEC: 0AE16170
	v_mul_f32_e32 v113, v113, v177                             // 000000004FF0: 0AE36371
	v_mul_f32_e32 v114, v114, v178                             // 000000004FF4: 0AE56572
	v_mul_f32_e32 v115, v115, v179                             // 000000004FF8: 0AE76773
	v_pk_mul_f32 v[4:5], v[116:117], v[116:117]                // 000000004FFC: D3B14004 1802E974
	v_pk_mul_f32 v[6:7], v[118:119], v[118:119]                // 000000005004: D3B14006 1802ED76
	v_pk_fma_f32 v[4:5], v[4:5], s[78:79], v[8:9]              // 00000000500C: D3B04004 1C209D04
	v_pk_fma_f32 v[6:7], v[6:7], s[78:79], v[8:9]              // 000000005014: D3B04006 1C209D06
	v_pk_mul_f32 v[4:5], v[4:5], v[116:117]                    // 00000000501C: D3B14004 1802E904
	v_pk_mul_f32 v[6:7], v[6:7], v[118:119]                    // 000000005024: D3B14006 1802ED06
	v_pk_mul_f32 v[4:5], v[4:5], s[60:61]                      // 00000000502C: D3B14004 18007904
	v_pk_mul_f32 v[6:7], v[6:7], s[60:61]                      // 000000005034: D3B14006 18007906
	v_exp_f32_e32 v4, v4                                       // 00000000503C: 7E084104
	v_exp_f32_e32 v5, v5                                       // 000000005040: 7E0A4105
	v_exp_f32_e32 v6, v6                                       // 000000005044: 7E0C4106
	v_exp_f32_e32 v7, v7                                       // 000000005048: 7E0E4107
	v_add_f32_e64 v4, v4, 1.0                                  // 00000000504C: D1010004 0001E504
	v_add_f32_e64 v5, v5, 1.0                                  // 000000005054: D1010005 0001E505
	v_add_f32_e64 v6, v6, 1.0                                  // 00000000505C: D1010006 0001E506
	v_add_f32_e64 v7, v7, 1.0                                  // 000000005064: D1010007 0001E507
	v_rcp_f32_e32 v4, v4                                       // 00000000506C: 7E084504
	v_rcp_f32_e32 v5, v5                                       // 000000005070: 7E0A4505
	v_rcp_f32_e32 v6, v6                                       // 000000005074: 7E0C4506
	v_rcp_f32_e32 v7, v7                                       // 000000005078: 7E0E4507
	v_mul_f32_e32 v116, v116, v4                               // 00000000507C: 0AE80974
	v_mul_f32_e32 v117, v117, v5                               // 000000005080: 0AEA0B75
	v_mul_f32_e32 v118, v118, v6                               // 000000005084: 0AEC0D76
	v_mul_f32_e32 v119, v119, v7                               // 000000005088: 0AEE0F77
	v_mul_f32_e32 v116, v116, v180                             // 00000000508C: 0AE96974
	v_mul_f32_e32 v117, v117, v181                             // 000000005090: 0AEB6B75
	v_mul_f32_e32 v118, v118, v182                             // 000000005094: 0AED6D76
	v_mul_f32_e32 v119, v119, v183                             // 000000005098: 0AEF6F77
	s_branch label_0BA8                                        // 00000000509C: BF820200

00000000000050a0 <label_09A8>:
	v_mul_f32_e64 v4, -v56, s6                                 // 0000000050A0: D1050004 20000D38
	v_mul_f32_e64 v5, -v57, s6                                 // 0000000050A8: D1050005 20000D39
	v_mul_f32_e64 v6, -v58, s6                                 // 0000000050B0: D1050006 20000D3A
	v_mul_f32_e64 v7, -v59, s6                                 // 0000000050B8: D1050007 20000D3B
	v_exp_f32_e32 v4, v4                                       // 0000000050C0: 7E084104
	v_exp_f32_e32 v5, v5                                       // 0000000050C4: 7E0A4105
	v_exp_f32_e32 v6, v6                                       // 0000000050C8: 7E0C4106
	v_exp_f32_e32 v7, v7                                       // 0000000050CC: 7E0E4107
	v_add_f32_e64 v4, v4, 1.0                                  // 0000000050D0: D1010004 0001E504
	v_add_f32_e64 v5, v5, 1.0                                  // 0000000050D8: D1010005 0001E505
	v_add_f32_e64 v6, v6, 1.0                                  // 0000000050E0: D1010006 0001E506
	v_add_f32_e64 v7, v7, 1.0                                  // 0000000050E8: D1010007 0001E507
	v_rcp_f32_e32 v4, v4                                       // 0000000050F0: 7E084504
	v_rcp_f32_e32 v5, v5                                       // 0000000050F4: 7E0A4505
	v_rcp_f32_e32 v6, v6                                       // 0000000050F8: 7E0C4506
	v_rcp_f32_e32 v7, v7                                       // 0000000050FC: 7E0E4507
	v_mul_f32_e32 v56, v56, v4                                 // 000000005100: 0A700938
	v_mul_f32_e32 v57, v57, v5                                 // 000000005104: 0A720B39
	v_mul_f32_e32 v58, v58, v6                                 // 000000005108: 0A740D3A
	v_mul_f32_e32 v59, v59, v7                                 // 00000000510C: 0A760F3B
	v_mul_f32_e32 v56, v56, v120                               // 000000005110: 0A70F138
	v_mul_f32_e32 v57, v57, v121                               // 000000005114: 0A72F339
	v_mul_f32_e32 v58, v58, v122                               // 000000005118: 0A74F53A
	v_mul_f32_e32 v59, v59, v123                               // 00000000511C: 0A76F73B
	v_mul_f32_e64 v4, -v60, s6                                 // 000000005120: D1050004 20000D3C
	v_mul_f32_e64 v5, -v61, s6                                 // 000000005128: D1050005 20000D3D
	v_mul_f32_e64 v6, -v62, s6                                 // 000000005130: D1050006 20000D3E
	v_mul_f32_e64 v7, -v63, s6                                 // 000000005138: D1050007 20000D3F
	v_exp_f32_e32 v4, v4                                       // 000000005140: 7E084104
	v_exp_f32_e32 v5, v5                                       // 000000005144: 7E0A4105
	v_exp_f32_e32 v6, v6                                       // 000000005148: 7E0C4106
	v_exp_f32_e32 v7, v7                                       // 00000000514C: 7E0E4107
	v_add_f32_e64 v4, v4, 1.0                                  // 000000005150: D1010004 0001E504
	v_add_f32_e64 v5, v5, 1.0                                  // 000000005158: D1010005 0001E505
	v_add_f32_e64 v6, v6, 1.0                                  // 000000005160: D1010006 0001E506
	v_add_f32_e64 v7, v7, 1.0                                  // 000000005168: D1010007 0001E507
	v_rcp_f32_e32 v4, v4                                       // 000000005170: 7E084504
	v_rcp_f32_e32 v5, v5                                       // 000000005174: 7E0A4505
	v_rcp_f32_e32 v6, v6                                       // 000000005178: 7E0C4506
	v_rcp_f32_e32 v7, v7                                       // 00000000517C: 7E0E4507
	v_mul_f32_e32 v60, v60, v4                                 // 000000005180: 0A78093C
	v_mul_f32_e32 v61, v61, v5                                 // 000000005184: 0A7A0B3D
	v_mul_f32_e32 v62, v62, v6                                 // 000000005188: 0A7C0D3E
	v_mul_f32_e32 v63, v63, v7                                 // 00000000518C: 0A7E0F3F
	v_mul_f32_e32 v60, v60, v124                               // 000000005190: 0A78F93C
	v_mul_f32_e32 v61, v61, v125                               // 000000005194: 0A7AFB3D
	v_mul_f32_e32 v62, v62, v126                               // 000000005198: 0A7CFD3E
	v_mul_f32_e32 v63, v63, v127                               // 00000000519C: 0A7EFF3F
	v_mul_f32_e64 v4, -v64, s6                                 // 0000000051A0: D1050004 20000D40
	v_mul_f32_e64 v5, -v65, s6                                 // 0000000051A8: D1050005 20000D41
	v_mul_f32_e64 v6, -v66, s6                                 // 0000000051B0: D1050006 20000D42
	v_mul_f32_e64 v7, -v67, s6                                 // 0000000051B8: D1050007 20000D43
	v_exp_f32_e32 v4, v4                                       // 0000000051C0: 7E084104
	v_exp_f32_e32 v5, v5                                       // 0000000051C4: 7E0A4105
	v_exp_f32_e32 v6, v6                                       // 0000000051C8: 7E0C4106
	v_exp_f32_e32 v7, v7                                       // 0000000051CC: 7E0E4107
	v_add_f32_e64 v4, v4, 1.0                                  // 0000000051D0: D1010004 0001E504
	v_add_f32_e64 v5, v5, 1.0                                  // 0000000051D8: D1010005 0001E505
	v_add_f32_e64 v6, v6, 1.0                                  // 0000000051E0: D1010006 0001E506
	v_add_f32_e64 v7, v7, 1.0                                  // 0000000051E8: D1010007 0001E507
	v_rcp_f32_e32 v4, v4                                       // 0000000051F0: 7E084504
	v_rcp_f32_e32 v5, v5                                       // 0000000051F4: 7E0A4505
	v_rcp_f32_e32 v6, v6                                       // 0000000051F8: 7E0C4506
	v_rcp_f32_e32 v7, v7                                       // 0000000051FC: 7E0E4507
	v_mul_f32_e32 v64, v64, v4                                 // 000000005200: 0A800940
	v_mul_f32_e32 v65, v65, v5                                 // 000000005204: 0A820B41
	v_mul_f32_e32 v66, v66, v6                                 // 000000005208: 0A840D42
	v_mul_f32_e32 v67, v67, v7                                 // 00000000520C: 0A860F43
	v_mul_f32_e32 v64, v64, v128                               // 000000005210: 0A810140
	v_mul_f32_e32 v65, v65, v129                               // 000000005214: 0A830341
	v_mul_f32_e32 v66, v66, v130                               // 000000005218: 0A850542
	v_mul_f32_e32 v67, v67, v131                               // 00000000521C: 0A870743
	v_mul_f32_e64 v4, -v68, s6                                 // 000000005220: D1050004 20000D44
	v_mul_f32_e64 v5, -v69, s6                                 // 000000005228: D1050005 20000D45
	v_mul_f32_e64 v6, -v70, s6                                 // 000000005230: D1050006 20000D46
	v_mul_f32_e64 v7, -v71, s6                                 // 000000005238: D1050007 20000D47
	v_exp_f32_e32 v4, v4                                       // 000000005240: 7E084104
	v_exp_f32_e32 v5, v5                                       // 000000005244: 7E0A4105
	v_exp_f32_e32 v6, v6                                       // 000000005248: 7E0C4106
	v_exp_f32_e32 v7, v7                                       // 00000000524C: 7E0E4107
	v_add_f32_e64 v4, v4, 1.0                                  // 000000005250: D1010004 0001E504
	v_add_f32_e64 v5, v5, 1.0                                  // 000000005258: D1010005 0001E505
	v_add_f32_e64 v6, v6, 1.0                                  // 000000005260: D1010006 0001E506
	v_add_f32_e64 v7, v7, 1.0                                  // 000000005268: D1010007 0001E507
	v_rcp_f32_e32 v4, v4                                       // 000000005270: 7E084504
	v_rcp_f32_e32 v5, v5                                       // 000000005274: 7E0A4505
	v_rcp_f32_e32 v6, v6                                       // 000000005278: 7E0C4506
	v_rcp_f32_e32 v7, v7                                       // 00000000527C: 7E0E4507
	v_mul_f32_e32 v68, v68, v4                                 // 000000005280: 0A880944
	v_mul_f32_e32 v69, v69, v5                                 // 000000005284: 0A8A0B45
	v_mul_f32_e32 v70, v70, v6                                 // 000000005288: 0A8C0D46
	v_mul_f32_e32 v71, v71, v7                                 // 00000000528C: 0A8E0F47
	v_mul_f32_e32 v68, v68, v132                               // 000000005290: 0A890944
	v_mul_f32_e32 v69, v69, v133                               // 000000005294: 0A8B0B45
	v_mul_f32_e32 v70, v70, v134                               // 000000005298: 0A8D0D46
	v_mul_f32_e32 v71, v71, v135                               // 00000000529C: 0A8F0F47
	v_mul_f32_e64 v4, -v72, s6                                 // 0000000052A0: D1050004 20000D48
	v_mul_f32_e64 v5, -v73, s6                                 // 0000000052A8: D1050005 20000D49
	v_mul_f32_e64 v6, -v74, s6                                 // 0000000052B0: D1050006 20000D4A
	v_mul_f32_e64 v7, -v75, s6                                 // 0000000052B8: D1050007 20000D4B
	v_exp_f32_e32 v4, v4                                       // 0000000052C0: 7E084104
	v_exp_f32_e32 v5, v5                                       // 0000000052C4: 7E0A4105
	v_exp_f32_e32 v6, v6                                       // 0000000052C8: 7E0C4106
	v_exp_f32_e32 v7, v7                                       // 0000000052CC: 7E0E4107
	v_add_f32_e64 v4, v4, 1.0                                  // 0000000052D0: D1010004 0001E504
	v_add_f32_e64 v5, v5, 1.0                                  // 0000000052D8: D1010005 0001E505
	v_add_f32_e64 v6, v6, 1.0                                  // 0000000052E0: D1010006 0001E506
	v_add_f32_e64 v7, v7, 1.0                                  // 0000000052E8: D1010007 0001E507
	v_rcp_f32_e32 v4, v4                                       // 0000000052F0: 7E084504
	v_rcp_f32_e32 v5, v5                                       // 0000000052F4: 7E0A4505
	v_rcp_f32_e32 v6, v6                                       // 0000000052F8: 7E0C4506
	v_rcp_f32_e32 v7, v7                                       // 0000000052FC: 7E0E4507
	v_mul_f32_e32 v72, v72, v4                                 // 000000005300: 0A900948
	v_mul_f32_e32 v73, v73, v5                                 // 000000005304: 0A920B49
	v_mul_f32_e32 v74, v74, v6                                 // 000000005308: 0A940D4A
	v_mul_f32_e32 v75, v75, v7                                 // 00000000530C: 0A960F4B
	v_mul_f32_e32 v72, v72, v136                               // 000000005310: 0A911148
	v_mul_f32_e32 v73, v73, v137                               // 000000005314: 0A931349
	v_mul_f32_e32 v74, v74, v138                               // 000000005318: 0A95154A
	v_mul_f32_e32 v75, v75, v139                               // 00000000531C: 0A97174B
	v_mul_f32_e64 v4, -v76, s6                                 // 000000005320: D1050004 20000D4C
	v_mul_f32_e64 v5, -v77, s6                                 // 000000005328: D1050005 20000D4D
	v_mul_f32_e64 v6, -v78, s6                                 // 000000005330: D1050006 20000D4E
	v_mul_f32_e64 v7, -v79, s6                                 // 000000005338: D1050007 20000D4F
	v_exp_f32_e32 v4, v4                                       // 000000005340: 7E084104
	v_exp_f32_e32 v5, v5                                       // 000000005344: 7E0A4105
	v_exp_f32_e32 v6, v6                                       // 000000005348: 7E0C4106
	v_exp_f32_e32 v7, v7                                       // 00000000534C: 7E0E4107
	v_add_f32_e64 v4, v4, 1.0                                  // 000000005350: D1010004 0001E504
	v_add_f32_e64 v5, v5, 1.0                                  // 000000005358: D1010005 0001E505
	v_add_f32_e64 v6, v6, 1.0                                  // 000000005360: D1010006 0001E506
	v_add_f32_e64 v7, v7, 1.0                                  // 000000005368: D1010007 0001E507
	v_rcp_f32_e32 v4, v4                                       // 000000005370: 7E084504
	v_rcp_f32_e32 v5, v5                                       // 000000005374: 7E0A4505
	v_rcp_f32_e32 v6, v6                                       // 000000005378: 7E0C4506
	v_rcp_f32_e32 v7, v7                                       // 00000000537C: 7E0E4507
	v_mul_f32_e32 v76, v76, v4                                 // 000000005380: 0A98094C
	v_mul_f32_e32 v77, v77, v5                                 // 000000005384: 0A9A0B4D
	v_mul_f32_e32 v78, v78, v6                                 // 000000005388: 0A9C0D4E
	v_mul_f32_e32 v79, v79, v7                                 // 00000000538C: 0A9E0F4F
	v_mul_f32_e32 v76, v76, v140                               // 000000005390: 0A99194C
	v_mul_f32_e32 v77, v77, v141                               // 000000005394: 0A9B1B4D
	v_mul_f32_e32 v78, v78, v142                               // 000000005398: 0A9D1D4E
	v_mul_f32_e32 v79, v79, v143                               // 00000000539C: 0A9F1F4F
	v_mul_f32_e64 v4, -v80, s6                                 // 0000000053A0: D1050004 20000D50
	v_mul_f32_e64 v5, -v81, s6                                 // 0000000053A8: D1050005 20000D51
	v_mul_f32_e64 v6, -v82, s6                                 // 0000000053B0: D1050006 20000D52
	v_mul_f32_e64 v7, -v83, s6                                 // 0000000053B8: D1050007 20000D53
	v_exp_f32_e32 v4, v4                                       // 0000000053C0: 7E084104
	v_exp_f32_e32 v5, v5                                       // 0000000053C4: 7E0A4105
	v_exp_f32_e32 v6, v6                                       // 0000000053C8: 7E0C4106
	v_exp_f32_e32 v7, v7                                       // 0000000053CC: 7E0E4107
	v_add_f32_e64 v4, v4, 1.0                                  // 0000000053D0: D1010004 0001E504
	v_add_f32_e64 v5, v5, 1.0                                  // 0000000053D8: D1010005 0001E505
	v_add_f32_e64 v6, v6, 1.0                                  // 0000000053E0: D1010006 0001E506
	v_add_f32_e64 v7, v7, 1.0                                  // 0000000053E8: D1010007 0001E507
	v_rcp_f32_e32 v4, v4                                       // 0000000053F0: 7E084504
	v_rcp_f32_e32 v5, v5                                       // 0000000053F4: 7E0A4505
	v_rcp_f32_e32 v6, v6                                       // 0000000053F8: 7E0C4506
	v_rcp_f32_e32 v7, v7                                       // 0000000053FC: 7E0E4507
	v_mul_f32_e32 v80, v80, v4                                 // 000000005400: 0AA00950
	v_mul_f32_e32 v81, v81, v5                                 // 000000005404: 0AA20B51
	v_mul_f32_e32 v82, v82, v6                                 // 000000005408: 0AA40D52
	v_mul_f32_e32 v83, v83, v7                                 // 00000000540C: 0AA60F53
	v_mul_f32_e32 v80, v80, v144                               // 000000005410: 0AA12150
	v_mul_f32_e32 v81, v81, v145                               // 000000005414: 0AA32351
	v_mul_f32_e32 v82, v82, v146                               // 000000005418: 0AA52552
	v_mul_f32_e32 v83, v83, v147                               // 00000000541C: 0AA72753
	v_mul_f32_e64 v4, -v84, s6                                 // 000000005420: D1050004 20000D54
	v_mul_f32_e64 v5, -v85, s6                                 // 000000005428: D1050005 20000D55
	v_mul_f32_e64 v6, -v86, s6                                 // 000000005430: D1050006 20000D56
	v_mul_f32_e64 v7, -v87, s6                                 // 000000005438: D1050007 20000D57
	v_exp_f32_e32 v4, v4                                       // 000000005440: 7E084104
	v_exp_f32_e32 v5, v5                                       // 000000005444: 7E0A4105
	v_exp_f32_e32 v6, v6                                       // 000000005448: 7E0C4106
	v_exp_f32_e32 v7, v7                                       // 00000000544C: 7E0E4107
	v_add_f32_e64 v4, v4, 1.0                                  // 000000005450: D1010004 0001E504
	v_add_f32_e64 v5, v5, 1.0                                  // 000000005458: D1010005 0001E505
	v_add_f32_e64 v6, v6, 1.0                                  // 000000005460: D1010006 0001E506
	v_add_f32_e64 v7, v7, 1.0                                  // 000000005468: D1010007 0001E507
	v_rcp_f32_e32 v4, v4                                       // 000000005470: 7E084504
	v_rcp_f32_e32 v5, v5                                       // 000000005474: 7E0A4505
	v_rcp_f32_e32 v6, v6                                       // 000000005478: 7E0C4506
	v_rcp_f32_e32 v7, v7                                       // 00000000547C: 7E0E4507
	v_mul_f32_e32 v84, v84, v4                                 // 000000005480: 0AA80954
	v_mul_f32_e32 v85, v85, v5                                 // 000000005484: 0AAA0B55
	v_mul_f32_e32 v86, v86, v6                                 // 000000005488: 0AAC0D56
	v_mul_f32_e32 v87, v87, v7                                 // 00000000548C: 0AAE0F57
	v_mul_f32_e32 v84, v84, v148                               // 000000005490: 0AA92954
	v_mul_f32_e32 v85, v85, v149                               // 000000005494: 0AAB2B55
	v_mul_f32_e32 v86, v86, v150                               // 000000005498: 0AAD2D56
	v_mul_f32_e32 v87, v87, v151                               // 00000000549C: 0AAF2F57
	v_mul_f32_e64 v4, -v88, s6                                 // 0000000054A0: D1050004 20000D58
	v_mul_f32_e64 v5, -v89, s6                                 // 0000000054A8: D1050005 20000D59
	v_mul_f32_e64 v6, -v90, s6                                 // 0000000054B0: D1050006 20000D5A
	v_mul_f32_e64 v7, -v91, s6                                 // 0000000054B8: D1050007 20000D5B
	v_exp_f32_e32 v4, v4                                       // 0000000054C0: 7E084104
	v_exp_f32_e32 v5, v5                                       // 0000000054C4: 7E0A4105
	v_exp_f32_e32 v6, v6                                       // 0000000054C8: 7E0C4106
	v_exp_f32_e32 v7, v7                                       // 0000000054CC: 7E0E4107
	v_add_f32_e64 v4, v4, 1.0                                  // 0000000054D0: D1010004 0001E504
	v_add_f32_e64 v5, v5, 1.0                                  // 0000000054D8: D1010005 0001E505
	v_add_f32_e64 v6, v6, 1.0                                  // 0000000054E0: D1010006 0001E506
	v_add_f32_e64 v7, v7, 1.0                                  // 0000000054E8: D1010007 0001E507
	v_rcp_f32_e32 v4, v4                                       // 0000000054F0: 7E084504
	v_rcp_f32_e32 v5, v5                                       // 0000000054F4: 7E0A4505
	v_rcp_f32_e32 v6, v6                                       // 0000000054F8: 7E0C4506
	v_rcp_f32_e32 v7, v7                                       // 0000000054FC: 7E0E4507
	v_mul_f32_e32 v88, v88, v4                                 // 000000005500: 0AB00958
	v_mul_f32_e32 v89, v89, v5                                 // 000000005504: 0AB20B59
	v_mul_f32_e32 v90, v90, v6                                 // 000000005508: 0AB40D5A
	v_mul_f32_e32 v91, v91, v7                                 // 00000000550C: 0AB60F5B
	v_mul_f32_e32 v88, v88, v152                               // 000000005510: 0AB13158
	v_mul_f32_e32 v89, v89, v153                               // 000000005514: 0AB33359
	v_mul_f32_e32 v90, v90, v154                               // 000000005518: 0AB5355A
	v_mul_f32_e32 v91, v91, v155                               // 00000000551C: 0AB7375B
	v_mul_f32_e64 v4, -v92, s6                                 // 000000005520: D1050004 20000D5C
	v_mul_f32_e64 v5, -v93, s6                                 // 000000005528: D1050005 20000D5D
	v_mul_f32_e64 v6, -v94, s6                                 // 000000005530: D1050006 20000D5E
	v_mul_f32_e64 v7, -v95, s6                                 // 000000005538: D1050007 20000D5F
	v_exp_f32_e32 v4, v4                                       // 000000005540: 7E084104
	v_exp_f32_e32 v5, v5                                       // 000000005544: 7E0A4105
	v_exp_f32_e32 v6, v6                                       // 000000005548: 7E0C4106
	v_exp_f32_e32 v7, v7                                       // 00000000554C: 7E0E4107
	v_add_f32_e64 v4, v4, 1.0                                  // 000000005550: D1010004 0001E504
	v_add_f32_e64 v5, v5, 1.0                                  // 000000005558: D1010005 0001E505
	v_add_f32_e64 v6, v6, 1.0                                  // 000000005560: D1010006 0001E506
	v_add_f32_e64 v7, v7, 1.0                                  // 000000005568: D1010007 0001E507
	v_rcp_f32_e32 v4, v4                                       // 000000005570: 7E084504
	v_rcp_f32_e32 v5, v5                                       // 000000005574: 7E0A4505
	v_rcp_f32_e32 v6, v6                                       // 000000005578: 7E0C4506
	v_rcp_f32_e32 v7, v7                                       // 00000000557C: 7E0E4507
	v_mul_f32_e32 v92, v92, v4                                 // 000000005580: 0AB8095C
	v_mul_f32_e32 v93, v93, v5                                 // 000000005584: 0ABA0B5D
	v_mul_f32_e32 v94, v94, v6                                 // 000000005588: 0ABC0D5E
	v_mul_f32_e32 v95, v95, v7                                 // 00000000558C: 0ABE0F5F
	v_mul_f32_e32 v92, v92, v156                               // 000000005590: 0AB9395C
	v_mul_f32_e32 v93, v93, v157                               // 000000005594: 0ABB3B5D
	v_mul_f32_e32 v94, v94, v158                               // 000000005598: 0ABD3D5E
	v_mul_f32_e32 v95, v95, v159                               // 00000000559C: 0ABF3F5F
	v_mul_f32_e64 v4, -v96, s6                                 // 0000000055A0: D1050004 20000D60
	v_mul_f32_e64 v5, -v97, s6                                 // 0000000055A8: D1050005 20000D61
	v_mul_f32_e64 v6, -v98, s6                                 // 0000000055B0: D1050006 20000D62
	v_mul_f32_e64 v7, -v99, s6                                 // 0000000055B8: D1050007 20000D63
	v_exp_f32_e32 v4, v4                                       // 0000000055C0: 7E084104
	v_exp_f32_e32 v5, v5                                       // 0000000055C4: 7E0A4105
	v_exp_f32_e32 v6, v6                                       // 0000000055C8: 7E0C4106
	v_exp_f32_e32 v7, v7                                       // 0000000055CC: 7E0E4107
	v_add_f32_e64 v4, v4, 1.0                                  // 0000000055D0: D1010004 0001E504
	v_add_f32_e64 v5, v5, 1.0                                  // 0000000055D8: D1010005 0001E505
	v_add_f32_e64 v6, v6, 1.0                                  // 0000000055E0: D1010006 0001E506
	v_add_f32_e64 v7, v7, 1.0                                  // 0000000055E8: D1010007 0001E507
	v_rcp_f32_e32 v4, v4                                       // 0000000055F0: 7E084504
	v_rcp_f32_e32 v5, v5                                       // 0000000055F4: 7E0A4505
	v_rcp_f32_e32 v6, v6                                       // 0000000055F8: 7E0C4506
	v_rcp_f32_e32 v7, v7                                       // 0000000055FC: 7E0E4507
	v_mul_f32_e32 v96, v96, v4                                 // 000000005600: 0AC00960
	v_mul_f32_e32 v97, v97, v5                                 // 000000005604: 0AC20B61
	v_mul_f32_e32 v98, v98, v6                                 // 000000005608: 0AC40D62
	v_mul_f32_e32 v99, v99, v7                                 // 00000000560C: 0AC60F63
	v_mul_f32_e32 v96, v96, v160                               // 000000005610: 0AC14160
	v_mul_f32_e32 v97, v97, v161                               // 000000005614: 0AC34361
	v_mul_f32_e32 v98, v98, v162                               // 000000005618: 0AC54562
	v_mul_f32_e32 v99, v99, v163                               // 00000000561C: 0AC74763
	v_mul_f32_e64 v4, -v100, s6                                // 000000005620: D1050004 20000D64
	v_mul_f32_e64 v5, -v101, s6                                // 000000005628: D1050005 20000D65
	v_mul_f32_e64 v6, -v102, s6                                // 000000005630: D1050006 20000D66
	v_mul_f32_e64 v7, -v103, s6                                // 000000005638: D1050007 20000D67
	v_exp_f32_e32 v4, v4                                       // 000000005640: 7E084104
	v_exp_f32_e32 v5, v5                                       // 000000005644: 7E0A4105
	v_exp_f32_e32 v6, v6                                       // 000000005648: 7E0C4106
	v_exp_f32_e32 v7, v7                                       // 00000000564C: 7E0E4107
	v_add_f32_e64 v4, v4, 1.0                                  // 000000005650: D1010004 0001E504
	v_add_f32_e64 v5, v5, 1.0                                  // 000000005658: D1010005 0001E505
	v_add_f32_e64 v6, v6, 1.0                                  // 000000005660: D1010006 0001E506
	v_add_f32_e64 v7, v7, 1.0                                  // 000000005668: D1010007 0001E507
	v_rcp_f32_e32 v4, v4                                       // 000000005670: 7E084504
	v_rcp_f32_e32 v5, v5                                       // 000000005674: 7E0A4505
	v_rcp_f32_e32 v6, v6                                       // 000000005678: 7E0C4506
	v_rcp_f32_e32 v7, v7                                       // 00000000567C: 7E0E4507
	v_mul_f32_e32 v100, v100, v4                               // 000000005680: 0AC80964
	v_mul_f32_e32 v101, v101, v5                               // 000000005684: 0ACA0B65
	v_mul_f32_e32 v102, v102, v6                               // 000000005688: 0ACC0D66
	v_mul_f32_e32 v103, v103, v7                               // 00000000568C: 0ACE0F67
	v_mul_f32_e32 v100, v100, v164                             // 000000005690: 0AC94964
	v_mul_f32_e32 v101, v101, v165                             // 000000005694: 0ACB4B65
	v_mul_f32_e32 v102, v102, v166                             // 000000005698: 0ACD4D66
	v_mul_f32_e32 v103, v103, v167                             // 00000000569C: 0ACF4F67
	v_mul_f32_e64 v4, -v104, s6                                // 0000000056A0: D1050004 20000D68
	v_mul_f32_e64 v5, -v105, s6                                // 0000000056A8: D1050005 20000D69
	v_mul_f32_e64 v6, -v106, s6                                // 0000000056B0: D1050006 20000D6A
	v_mul_f32_e64 v7, -v107, s6                                // 0000000056B8: D1050007 20000D6B
	v_exp_f32_e32 v4, v4                                       // 0000000056C0: 7E084104
	v_exp_f32_e32 v5, v5                                       // 0000000056C4: 7E0A4105
	v_exp_f32_e32 v6, v6                                       // 0000000056C8: 7E0C4106
	v_exp_f32_e32 v7, v7                                       // 0000000056CC: 7E0E4107
	v_add_f32_e64 v4, v4, 1.0                                  // 0000000056D0: D1010004 0001E504
	v_add_f32_e64 v5, v5, 1.0                                  // 0000000056D8: D1010005 0001E505
	v_add_f32_e64 v6, v6, 1.0                                  // 0000000056E0: D1010006 0001E506
	v_add_f32_e64 v7, v7, 1.0                                  // 0000000056E8: D1010007 0001E507
	v_rcp_f32_e32 v4, v4                                       // 0000000056F0: 7E084504
	v_rcp_f32_e32 v5, v5                                       // 0000000056F4: 7E0A4505
	v_rcp_f32_e32 v6, v6                                       // 0000000056F8: 7E0C4506
	v_rcp_f32_e32 v7, v7                                       // 0000000056FC: 7E0E4507
	v_mul_f32_e32 v104, v104, v4                               // 000000005700: 0AD00968
	v_mul_f32_e32 v105, v105, v5                               // 000000005704: 0AD20B69
	v_mul_f32_e32 v106, v106, v6                               // 000000005708: 0AD40D6A
	v_mul_f32_e32 v107, v107, v7                               // 00000000570C: 0AD60F6B
	v_mul_f32_e32 v104, v104, v168                             // 000000005710: 0AD15168
	v_mul_f32_e32 v105, v105, v169                             // 000000005714: 0AD35369
	v_mul_f32_e32 v106, v106, v170                             // 000000005718: 0AD5556A
	v_mul_f32_e32 v107, v107, v171                             // 00000000571C: 0AD7576B
	v_mul_f32_e64 v4, -v108, s6                                // 000000005720: D1050004 20000D6C
	v_mul_f32_e64 v5, -v109, s6                                // 000000005728: D1050005 20000D6D
	v_mul_f32_e64 v6, -v110, s6                                // 000000005730: D1050006 20000D6E
	v_mul_f32_e64 v7, -v111, s6                                // 000000005738: D1050007 20000D6F
	v_exp_f32_e32 v4, v4                                       // 000000005740: 7E084104
	v_exp_f32_e32 v5, v5                                       // 000000005744: 7E0A4105
	v_exp_f32_e32 v6, v6                                       // 000000005748: 7E0C4106
	v_exp_f32_e32 v7, v7                                       // 00000000574C: 7E0E4107
	v_add_f32_e64 v4, v4, 1.0                                  // 000000005750: D1010004 0001E504
	v_add_f32_e64 v5, v5, 1.0                                  // 000000005758: D1010005 0001E505
	v_add_f32_e64 v6, v6, 1.0                                  // 000000005760: D1010006 0001E506
	v_add_f32_e64 v7, v7, 1.0                                  // 000000005768: D1010007 0001E507
	v_rcp_f32_e32 v4, v4                                       // 000000005770: 7E084504
	v_rcp_f32_e32 v5, v5                                       // 000000005774: 7E0A4505
	v_rcp_f32_e32 v6, v6                                       // 000000005778: 7E0C4506
	v_rcp_f32_e32 v7, v7                                       // 00000000577C: 7E0E4507
	v_mul_f32_e32 v108, v108, v4                               // 000000005780: 0AD8096C
	v_mul_f32_e32 v109, v109, v5                               // 000000005784: 0ADA0B6D
	v_mul_f32_e32 v110, v110, v6                               // 000000005788: 0ADC0D6E
	v_mul_f32_e32 v111, v111, v7                               // 00000000578C: 0ADE0F6F
	v_mul_f32_e32 v108, v108, v172                             // 000000005790: 0AD9596C
	v_mul_f32_e32 v109, v109, v173                             // 000000005794: 0ADB5B6D
	v_mul_f32_e32 v110, v110, v174                             // 000000005798: 0ADD5D6E
	v_mul_f32_e32 v111, v111, v175                             // 00000000579C: 0ADF5F6F
	v_mul_f32_e64 v4, -v112, s6                                // 0000000057A0: D1050004 20000D70
	v_mul_f32_e64 v5, -v113, s6                                // 0000000057A8: D1050005 20000D71
	v_mul_f32_e64 v6, -v114, s6                                // 0000000057B0: D1050006 20000D72
	v_mul_f32_e64 v7, -v115, s6                                // 0000000057B8: D1050007 20000D73
	v_exp_f32_e32 v4, v4                                       // 0000000057C0: 7E084104
	v_exp_f32_e32 v5, v5                                       // 0000000057C4: 7E0A4105
	v_exp_f32_e32 v6, v6                                       // 0000000057C8: 7E0C4106
	v_exp_f32_e32 v7, v7                                       // 0000000057CC: 7E0E4107
	v_add_f32_e64 v4, v4, 1.0                                  // 0000000057D0: D1010004 0001E504
	v_add_f32_e64 v5, v5, 1.0                                  // 0000000057D8: D1010005 0001E505
	v_add_f32_e64 v6, v6, 1.0                                  // 0000000057E0: D1010006 0001E506
	v_add_f32_e64 v7, v7, 1.0                                  // 0000000057E8: D1010007 0001E507
	v_rcp_f32_e32 v4, v4                                       // 0000000057F0: 7E084504
	v_rcp_f32_e32 v5, v5                                       // 0000000057F4: 7E0A4505
	v_rcp_f32_e32 v6, v6                                       // 0000000057F8: 7E0C4506
	v_rcp_f32_e32 v7, v7                                       // 0000000057FC: 7E0E4507
	v_mul_f32_e32 v112, v112, v4                               // 000000005800: 0AE00970
	v_mul_f32_e32 v113, v113, v5                               // 000000005804: 0AE20B71
	v_mul_f32_e32 v114, v114, v6                               // 000000005808: 0AE40D72
	v_mul_f32_e32 v115, v115, v7                               // 00000000580C: 0AE60F73
	v_mul_f32_e32 v112, v112, v176                             // 000000005810: 0AE16170
	v_mul_f32_e32 v113, v113, v177                             // 000000005814: 0AE36371
	v_mul_f32_e32 v114, v114, v178                             // 000000005818: 0AE56572
	v_mul_f32_e32 v115, v115, v179                             // 00000000581C: 0AE76773
	v_mul_f32_e64 v4, -v116, s6                                // 000000005820: D1050004 20000D74
	v_mul_f32_e64 v5, -v117, s6                                // 000000005828: D1050005 20000D75
	v_mul_f32_e64 v6, -v118, s6                                // 000000005830: D1050006 20000D76
	v_mul_f32_e64 v7, -v119, s6                                // 000000005838: D1050007 20000D77
	v_exp_f32_e32 v4, v4                                       // 000000005840: 7E084104
	v_exp_f32_e32 v5, v5                                       // 000000005844: 7E0A4105
	v_exp_f32_e32 v6, v6                                       // 000000005848: 7E0C4106
	v_exp_f32_e32 v7, v7                                       // 00000000584C: 7E0E4107
	v_add_f32_e64 v4, v4, 1.0                                  // 000000005850: D1010004 0001E504
	v_add_f32_e64 v5, v5, 1.0                                  // 000000005858: D1010005 0001E505
	v_add_f32_e64 v6, v6, 1.0                                  // 000000005860: D1010006 0001E506
	v_add_f32_e64 v7, v7, 1.0                                  // 000000005868: D1010007 0001E507
	v_rcp_f32_e32 v4, v4                                       // 000000005870: 7E084504
	v_rcp_f32_e32 v5, v5                                       // 000000005874: 7E0A4505
	v_rcp_f32_e32 v6, v6                                       // 000000005878: 7E0C4506
	v_rcp_f32_e32 v7, v7                                       // 00000000587C: 7E0E4507
	v_mul_f32_e32 v116, v116, v4                               // 000000005880: 0AE80974
	v_mul_f32_e32 v117, v117, v5                               // 000000005884: 0AEA0B75
	v_mul_f32_e32 v118, v118, v6                               // 000000005888: 0AEC0D76
	v_mul_f32_e32 v119, v119, v7                               // 00000000588C: 0AEE0F77
	v_mul_f32_e32 v116, v116, v180                             // 000000005890: 0AE96974
	v_mul_f32_e32 v117, v117, v181                             // 000000005894: 0AEB6B75
	v_mul_f32_e32 v118, v118, v182                             // 000000005898: 0AED6D76
	v_mul_f32_e32 v119, v119, v183                             // 00000000589C: 0AEF6F77

00000000000058a0 <label_0BA8>:
	v_cmp_u_f32_e64 s[46:47], v56, v56                         // 0000000058A0: D048002E 00027138
	v_add3_u32 v16, v56, v19, 1                                // 0000000058A8: D1FF0010 02062738
	v_cndmask_b32_e64 v4, v16, v18, s[46:47]                   // 0000000058B0: D1000004 00BA2510
	v_cmp_u_f32_e64 s[46:47], v57, v57                         // 0000000058B8: D048002E 00027339
	v_add3_u32 v16, v57, v19, 1                                // 0000000058C0: D1FF0010 02062739
	v_cndmask_b32_e64 v5, v16, v18, s[46:47]                   // 0000000058C8: D1000005 00BA2510
	v_perm_b32 v56, v5, v4, s52                                // 0000000058D0: D1ED0038 00D20905
	v_cmp_u_f32_e64 s[46:47], v58, v58                         // 0000000058D8: D048002E 0002753A
	v_add3_u32 v16, v58, v19, 1                                // 0000000058E0: D1FF0010 0206273A
	v_cndmask_b32_e64 v4, v16, v18, s[46:47]                   // 0000000058E8: D1000004 00BA2510
	v_cmp_u_f32_e64 s[46:47], v59, v59                         // 0000000058F0: D048002E 0002773B
	v_add3_u32 v16, v59, v19, 1                                // 0000000058F8: D1FF0010 0206273B
	v_cndmask_b32_e64 v5, v16, v18, s[46:47]                   // 000000005900: D1000005 00BA2510
	v_perm_b32 v57, v5, v4, s52                                // 000000005908: D1ED0039 00D20905
	v_cmp_u_f32_e64 s[46:47], v60, v60                         // 000000005910: D048002E 0002793C
	v_add3_u32 v16, v60, v19, 1                                // 000000005918: D1FF0010 0206273C
	v_cndmask_b32_e64 v4, v16, v18, s[46:47]                   // 000000005920: D1000004 00BA2510
	v_cmp_u_f32_e64 s[46:47], v61, v61                         // 000000005928: D048002E 00027B3D
	v_add3_u32 v16, v61, v19, 1                                // 000000005930: D1FF0010 0206273D
	v_cndmask_b32_e64 v5, v16, v18, s[46:47]                   // 000000005938: D1000005 00BA2510
	v_perm_b32 v58, v5, v4, s52                                // 000000005940: D1ED003A 00D20905
	v_cmp_u_f32_e64 s[46:47], v62, v62                         // 000000005948: D048002E 00027D3E
	v_add3_u32 v16, v62, v19, 1                                // 000000005950: D1FF0010 0206273E
	v_cndmask_b32_e64 v4, v16, v18, s[46:47]                   // 000000005958: D1000004 00BA2510
	v_cmp_u_f32_e64 s[46:47], v63, v63                         // 000000005960: D048002E 00027F3F
	v_add3_u32 v16, v63, v19, 1                                // 000000005968: D1FF0010 0206273F
	v_cndmask_b32_e64 v5, v16, v18, s[46:47]                   // 000000005970: D1000005 00BA2510
	v_perm_b32 v59, v5, v4, s52                                // 000000005978: D1ED003B 00D20905
	v_cmp_u_f32_e64 s[46:47], v64, v64                         // 000000005980: D048002E 00028140
	v_add3_u32 v16, v64, v19, 1                                // 000000005988: D1FF0010 02062740
	v_cndmask_b32_e64 v4, v16, v18, s[46:47]                   // 000000005990: D1000004 00BA2510
	v_cmp_u_f32_e64 s[46:47], v65, v65                         // 000000005998: D048002E 00028341
	v_add3_u32 v16, v65, v19, 1                                // 0000000059A0: D1FF0010 02062741
	v_cndmask_b32_e64 v5, v16, v18, s[46:47]                   // 0000000059A8: D1000005 00BA2510
	v_perm_b32 v60, v5, v4, s52                                // 0000000059B0: D1ED003C 00D20905
	v_cmp_u_f32_e64 s[46:47], v66, v66                         // 0000000059B8: D048002E 00028542
	v_add3_u32 v16, v66, v19, 1                                // 0000000059C0: D1FF0010 02062742
	v_cndmask_b32_e64 v4, v16, v18, s[46:47]                   // 0000000059C8: D1000004 00BA2510
	v_cmp_u_f32_e64 s[46:47], v67, v67                         // 0000000059D0: D048002E 00028743
	v_add3_u32 v16, v67, v19, 1                                // 0000000059D8: D1FF0010 02062743
	v_cndmask_b32_e64 v5, v16, v18, s[46:47]                   // 0000000059E0: D1000005 00BA2510
	v_perm_b32 v61, v5, v4, s52                                // 0000000059E8: D1ED003D 00D20905
	v_cmp_u_f32_e64 s[46:47], v68, v68                         // 0000000059F0: D048002E 00028944
	v_add3_u32 v16, v68, v19, 1                                // 0000000059F8: D1FF0010 02062744
	v_cndmask_b32_e64 v4, v16, v18, s[46:47]                   // 000000005A00: D1000004 00BA2510
	v_cmp_u_f32_e64 s[46:47], v69, v69                         // 000000005A08: D048002E 00028B45
	v_add3_u32 v16, v69, v19, 1                                // 000000005A10: D1FF0010 02062745
	v_cndmask_b32_e64 v5, v16, v18, s[46:47]                   // 000000005A18: D1000005 00BA2510
	v_perm_b32 v62, v5, v4, s52                                // 000000005A20: D1ED003E 00D20905
	v_cmp_u_f32_e64 s[46:47], v70, v70                         // 000000005A28: D048002E 00028D46
	v_add3_u32 v16, v70, v19, 1                                // 000000005A30: D1FF0010 02062746
	v_cndmask_b32_e64 v4, v16, v18, s[46:47]                   // 000000005A38: D1000004 00BA2510
	v_cmp_u_f32_e64 s[46:47], v71, v71                         // 000000005A40: D048002E 00028F47
	v_add3_u32 v16, v71, v19, 1                                // 000000005A48: D1FF0010 02062747
	v_cndmask_b32_e64 v5, v16, v18, s[46:47]                   // 000000005A50: D1000005 00BA2510
	v_perm_b32 v63, v5, v4, s52                                // 000000005A58: D1ED003F 00D20905
	v_cmp_u_f32_e64 s[46:47], v72, v72                         // 000000005A60: D048002E 00029148
	v_add3_u32 v16, v72, v19, 1                                // 000000005A68: D1FF0010 02062748
	v_cndmask_b32_e64 v4, v16, v18, s[46:47]                   // 000000005A70: D1000004 00BA2510
	v_cmp_u_f32_e64 s[46:47], v73, v73                         // 000000005A78: D048002E 00029349
	v_add3_u32 v16, v73, v19, 1                                // 000000005A80: D1FF0010 02062749
	v_cndmask_b32_e64 v5, v16, v18, s[46:47]                   // 000000005A88: D1000005 00BA2510
	v_perm_b32 v64, v5, v4, s52                                // 000000005A90: D1ED0040 00D20905
	v_cmp_u_f32_e64 s[46:47], v74, v74                         // 000000005A98: D048002E 0002954A
	v_add3_u32 v16, v74, v19, 1                                // 000000005AA0: D1FF0010 0206274A
	v_cndmask_b32_e64 v4, v16, v18, s[46:47]                   // 000000005AA8: D1000004 00BA2510
	v_cmp_u_f32_e64 s[46:47], v75, v75                         // 000000005AB0: D048002E 0002974B
	v_add3_u32 v16, v75, v19, 1                                // 000000005AB8: D1FF0010 0206274B
	v_cndmask_b32_e64 v5, v16, v18, s[46:47]                   // 000000005AC0: D1000005 00BA2510
	v_perm_b32 v65, v5, v4, s52                                // 000000005AC8: D1ED0041 00D20905
	v_cmp_u_f32_e64 s[46:47], v76, v76                         // 000000005AD0: D048002E 0002994C
	v_add3_u32 v16, v76, v19, 1                                // 000000005AD8: D1FF0010 0206274C
	v_cndmask_b32_e64 v4, v16, v18, s[46:47]                   // 000000005AE0: D1000004 00BA2510
	v_cmp_u_f32_e64 s[46:47], v77, v77                         // 000000005AE8: D048002E 00029B4D
	v_add3_u32 v16, v77, v19, 1                                // 000000005AF0: D1FF0010 0206274D
	v_cndmask_b32_e64 v5, v16, v18, s[46:47]                   // 000000005AF8: D1000005 00BA2510
	v_perm_b32 v66, v5, v4, s52                                // 000000005B00: D1ED0042 00D20905
	v_cmp_u_f32_e64 s[46:47], v78, v78                         // 000000005B08: D048002E 00029D4E
	v_add3_u32 v16, v78, v19, 1                                // 000000005B10: D1FF0010 0206274E
	v_cndmask_b32_e64 v4, v16, v18, s[46:47]                   // 000000005B18: D1000004 00BA2510
	v_cmp_u_f32_e64 s[46:47], v79, v79                         // 000000005B20: D048002E 00029F4F
	v_add3_u32 v16, v79, v19, 1                                // 000000005B28: D1FF0010 0206274F
	v_cndmask_b32_e64 v5, v16, v18, s[46:47]                   // 000000005B30: D1000005 00BA2510
	v_perm_b32 v67, v5, v4, s52                                // 000000005B38: D1ED0043 00D20905
	v_cmp_u_f32_e64 s[46:47], v80, v80                         // 000000005B40: D048002E 0002A150
	v_add3_u32 v16, v80, v19, 1                                // 000000005B48: D1FF0010 02062750
	v_cndmask_b32_e64 v4, v16, v18, s[46:47]                   // 000000005B50: D1000004 00BA2510
	v_cmp_u_f32_e64 s[46:47], v81, v81                         // 000000005B58: D048002E 0002A351
	v_add3_u32 v16, v81, v19, 1                                // 000000005B60: D1FF0010 02062751
	v_cndmask_b32_e64 v5, v16, v18, s[46:47]                   // 000000005B68: D1000005 00BA2510
	v_perm_b32 v68, v5, v4, s52                                // 000000005B70: D1ED0044 00D20905
	v_cmp_u_f32_e64 s[46:47], v82, v82                         // 000000005B78: D048002E 0002A552
	v_add3_u32 v16, v82, v19, 1                                // 000000005B80: D1FF0010 02062752
	v_cndmask_b32_e64 v4, v16, v18, s[46:47]                   // 000000005B88: D1000004 00BA2510
	v_cmp_u_f32_e64 s[46:47], v83, v83                         // 000000005B90: D048002E 0002A753
	v_add3_u32 v16, v83, v19, 1                                // 000000005B98: D1FF0010 02062753
	v_cndmask_b32_e64 v5, v16, v18, s[46:47]                   // 000000005BA0: D1000005 00BA2510
	v_perm_b32 v69, v5, v4, s52                                // 000000005BA8: D1ED0045 00D20905
	v_cmp_u_f32_e64 s[46:47], v84, v84                         // 000000005BB0: D048002E 0002A954
	v_add3_u32 v16, v84, v19, 1                                // 000000005BB8: D1FF0010 02062754
	v_cndmask_b32_e64 v4, v16, v18, s[46:47]                   // 000000005BC0: D1000004 00BA2510
	v_cmp_u_f32_e64 s[46:47], v85, v85                         // 000000005BC8: D048002E 0002AB55
	v_add3_u32 v16, v85, v19, 1                                // 000000005BD0: D1FF0010 02062755
	v_cndmask_b32_e64 v5, v16, v18, s[46:47]                   // 000000005BD8: D1000005 00BA2510
	v_perm_b32 v70, v5, v4, s52                                // 000000005BE0: D1ED0046 00D20905
	v_cmp_u_f32_e64 s[46:47], v86, v86                         // 000000005BE8: D048002E 0002AD56
	v_add3_u32 v16, v86, v19, 1                                // 000000005BF0: D1FF0010 02062756
	v_cndmask_b32_e64 v4, v16, v18, s[46:47]                   // 000000005BF8: D1000004 00BA2510
	v_cmp_u_f32_e64 s[46:47], v87, v87                         // 000000005C00: D048002E 0002AF57
	v_add3_u32 v16, v87, v19, 1                                // 000000005C08: D1FF0010 02062757
	v_cndmask_b32_e64 v5, v16, v18, s[46:47]                   // 000000005C10: D1000005 00BA2510
	v_perm_b32 v71, v5, v4, s52                                // 000000005C18: D1ED0047 00D20905
	v_cmp_u_f32_e64 s[46:47], v88, v88                         // 000000005C20: D048002E 0002B158
	v_add3_u32 v16, v88, v19, 1                                // 000000005C28: D1FF0010 02062758
	v_cndmask_b32_e64 v4, v16, v18, s[46:47]                   // 000000005C30: D1000004 00BA2510
	v_cmp_u_f32_e64 s[46:47], v89, v89                         // 000000005C38: D048002E 0002B359
	v_add3_u32 v16, v89, v19, 1                                // 000000005C40: D1FF0010 02062759
	v_cndmask_b32_e64 v5, v16, v18, s[46:47]                   // 000000005C48: D1000005 00BA2510
	v_perm_b32 v72, v5, v4, s52                                // 000000005C50: D1ED0048 00D20905
	v_cmp_u_f32_e64 s[46:47], v90, v90                         // 000000005C58: D048002E 0002B55A
	v_add3_u32 v16, v90, v19, 1                                // 000000005C60: D1FF0010 0206275A
	v_cndmask_b32_e64 v4, v16, v18, s[46:47]                   // 000000005C68: D1000004 00BA2510
	v_cmp_u_f32_e64 s[46:47], v91, v91                         // 000000005C70: D048002E 0002B75B
	v_add3_u32 v16, v91, v19, 1                                // 000000005C78: D1FF0010 0206275B
	v_cndmask_b32_e64 v5, v16, v18, s[46:47]                   // 000000005C80: D1000005 00BA2510
	v_perm_b32 v73, v5, v4, s52                                // 000000005C88: D1ED0049 00D20905
	v_cmp_u_f32_e64 s[46:47], v92, v92                         // 000000005C90: D048002E 0002B95C
	v_add3_u32 v16, v92, v19, 1                                // 000000005C98: D1FF0010 0206275C
	v_cndmask_b32_e64 v4, v16, v18, s[46:47]                   // 000000005CA0: D1000004 00BA2510
	v_cmp_u_f32_e64 s[46:47], v93, v93                         // 000000005CA8: D048002E 0002BB5D
	v_add3_u32 v16, v93, v19, 1                                // 000000005CB0: D1FF0010 0206275D
	v_cndmask_b32_e64 v5, v16, v18, s[46:47]                   // 000000005CB8: D1000005 00BA2510
	v_perm_b32 v74, v5, v4, s52                                // 000000005CC0: D1ED004A 00D20905
	v_cmp_u_f32_e64 s[46:47], v94, v94                         // 000000005CC8: D048002E 0002BD5E
	v_add3_u32 v16, v94, v19, 1                                // 000000005CD0: D1FF0010 0206275E
	v_cndmask_b32_e64 v4, v16, v18, s[46:47]                   // 000000005CD8: D1000004 00BA2510
	v_cmp_u_f32_e64 s[46:47], v95, v95                         // 000000005CE0: D048002E 0002BF5F
	v_add3_u32 v16, v95, v19, 1                                // 000000005CE8: D1FF0010 0206275F
	v_cndmask_b32_e64 v5, v16, v18, s[46:47]                   // 000000005CF0: D1000005 00BA2510
	v_perm_b32 v75, v5, v4, s52                                // 000000005CF8: D1ED004B 00D20905
	v_cmp_u_f32_e64 s[46:47], v96, v96                         // 000000005D00: D048002E 0002C160
	v_add3_u32 v16, v96, v19, 1                                // 000000005D08: D1FF0010 02062760
	v_cndmask_b32_e64 v4, v16, v18, s[46:47]                   // 000000005D10: D1000004 00BA2510
	v_cmp_u_f32_e64 s[46:47], v97, v97                         // 000000005D18: D048002E 0002C361
	v_add3_u32 v16, v97, v19, 1                                // 000000005D20: D1FF0010 02062761
	v_cndmask_b32_e64 v5, v16, v18, s[46:47]                   // 000000005D28: D1000005 00BA2510
	v_perm_b32 v76, v5, v4, s52                                // 000000005D30: D1ED004C 00D20905
	v_cmp_u_f32_e64 s[46:47], v98, v98                         // 000000005D38: D048002E 0002C562
	v_add3_u32 v16, v98, v19, 1                                // 000000005D40: D1FF0010 02062762
	v_cndmask_b32_e64 v4, v16, v18, s[46:47]                   // 000000005D48: D1000004 00BA2510
	v_cmp_u_f32_e64 s[46:47], v99, v99                         // 000000005D50: D048002E 0002C763
	v_add3_u32 v16, v99, v19, 1                                // 000000005D58: D1FF0010 02062763
	v_cndmask_b32_e64 v5, v16, v18, s[46:47]                   // 000000005D60: D1000005 00BA2510
	v_perm_b32 v77, v5, v4, s52                                // 000000005D68: D1ED004D 00D20905
	v_cmp_u_f32_e64 s[46:47], v100, v100                       // 000000005D70: D048002E 0002C964
	v_add3_u32 v16, v100, v19, 1                               // 000000005D78: D1FF0010 02062764
	v_cndmask_b32_e64 v4, v16, v18, s[46:47]                   // 000000005D80: D1000004 00BA2510
	v_cmp_u_f32_e64 s[46:47], v101, v101                       // 000000005D88: D048002E 0002CB65
	v_add3_u32 v16, v101, v19, 1                               // 000000005D90: D1FF0010 02062765
	v_cndmask_b32_e64 v5, v16, v18, s[46:47]                   // 000000005D98: D1000005 00BA2510
	v_perm_b32 v78, v5, v4, s52                                // 000000005DA0: D1ED004E 00D20905
	v_cmp_u_f32_e64 s[46:47], v102, v102                       // 000000005DA8: D048002E 0002CD66
	v_add3_u32 v16, v102, v19, 1                               // 000000005DB0: D1FF0010 02062766
	v_cndmask_b32_e64 v4, v16, v18, s[46:47]                   // 000000005DB8: D1000004 00BA2510
	v_cmp_u_f32_e64 s[46:47], v103, v103                       // 000000005DC0: D048002E 0002CF67
	v_add3_u32 v16, v103, v19, 1                               // 000000005DC8: D1FF0010 02062767
	v_cndmask_b32_e64 v5, v16, v18, s[46:47]                   // 000000005DD0: D1000005 00BA2510
	v_perm_b32 v79, v5, v4, s52                                // 000000005DD8: D1ED004F 00D20905
	v_cmp_u_f32_e64 s[46:47], v104, v104                       // 000000005DE0: D048002E 0002D168
	v_add3_u32 v16, v104, v19, 1                               // 000000005DE8: D1FF0010 02062768
	v_cndmask_b32_e64 v4, v16, v18, s[46:47]                   // 000000005DF0: D1000004 00BA2510
	v_cmp_u_f32_e64 s[46:47], v105, v105                       // 000000005DF8: D048002E 0002D369
	v_add3_u32 v16, v105, v19, 1                               // 000000005E00: D1FF0010 02062769
	v_cndmask_b32_e64 v5, v16, v18, s[46:47]                   // 000000005E08: D1000005 00BA2510
	v_perm_b32 v80, v5, v4, s52                                // 000000005E10: D1ED0050 00D20905
	v_cmp_u_f32_e64 s[46:47], v106, v106                       // 000000005E18: D048002E 0002D56A
	v_add3_u32 v16, v106, v19, 1                               // 000000005E20: D1FF0010 0206276A
	v_cndmask_b32_e64 v4, v16, v18, s[46:47]                   // 000000005E28: D1000004 00BA2510
	v_cmp_u_f32_e64 s[46:47], v107, v107                       // 000000005E30: D048002E 0002D76B
	v_add3_u32 v16, v107, v19, 1                               // 000000005E38: D1FF0010 0206276B
	v_cndmask_b32_e64 v5, v16, v18, s[46:47]                   // 000000005E40: D1000005 00BA2510
	v_perm_b32 v81, v5, v4, s52                                // 000000005E48: D1ED0051 00D20905
	v_cmp_u_f32_e64 s[46:47], v108, v108                       // 000000005E50: D048002E 0002D96C
	v_add3_u32 v16, v108, v19, 1                               // 000000005E58: D1FF0010 0206276C
	v_cndmask_b32_e64 v4, v16, v18, s[46:47]                   // 000000005E60: D1000004 00BA2510
	v_cmp_u_f32_e64 s[46:47], v109, v109                       // 000000005E68: D048002E 0002DB6D
	v_add3_u32 v16, v109, v19, 1                               // 000000005E70: D1FF0010 0206276D
	v_cndmask_b32_e64 v5, v16, v18, s[46:47]                   // 000000005E78: D1000005 00BA2510
	v_perm_b32 v82, v5, v4, s52                                // 000000005E80: D1ED0052 00D20905
	v_cmp_u_f32_e64 s[46:47], v110, v110                       // 000000005E88: D048002E 0002DD6E
	v_add3_u32 v16, v110, v19, 1                               // 000000005E90: D1FF0010 0206276E
	v_cndmask_b32_e64 v4, v16, v18, s[46:47]                   // 000000005E98: D1000004 00BA2510
	v_cmp_u_f32_e64 s[46:47], v111, v111                       // 000000005EA0: D048002E 0002DF6F
	v_add3_u32 v16, v111, v19, 1                               // 000000005EA8: D1FF0010 0206276F
	v_cndmask_b32_e64 v5, v16, v18, s[46:47]                   // 000000005EB0: D1000005 00BA2510
	v_perm_b32 v83, v5, v4, s52                                // 000000005EB8: D1ED0053 00D20905
	v_cmp_u_f32_e64 s[46:47], v112, v112                       // 000000005EC0: D048002E 0002E170
	v_add3_u32 v16, v112, v19, 1                               // 000000005EC8: D1FF0010 02062770
	v_cndmask_b32_e64 v4, v16, v18, s[46:47]                   // 000000005ED0: D1000004 00BA2510
	v_cmp_u_f32_e64 s[46:47], v113, v113                       // 000000005ED8: D048002E 0002E371
	v_add3_u32 v16, v113, v19, 1                               // 000000005EE0: D1FF0010 02062771
	v_cndmask_b32_e64 v5, v16, v18, s[46:47]                   // 000000005EE8: D1000005 00BA2510
	v_perm_b32 v84, v5, v4, s52                                // 000000005EF0: D1ED0054 00D20905
	v_cmp_u_f32_e64 s[46:47], v114, v114                       // 000000005EF8: D048002E 0002E572
	v_add3_u32 v16, v114, v19, 1                               // 000000005F00: D1FF0010 02062772
	v_cndmask_b32_e64 v4, v16, v18, s[46:47]                   // 000000005F08: D1000004 00BA2510
	v_cmp_u_f32_e64 s[46:47], v115, v115                       // 000000005F10: D048002E 0002E773
	v_add3_u32 v16, v115, v19, 1                               // 000000005F18: D1FF0010 02062773
	v_cndmask_b32_e64 v5, v16, v18, s[46:47]                   // 000000005F20: D1000005 00BA2510
	v_perm_b32 v85, v5, v4, s52                                // 000000005F28: D1ED0055 00D20905
	v_cmp_u_f32_e64 s[46:47], v116, v116                       // 000000005F30: D048002E 0002E974
	v_add3_u32 v16, v116, v19, 1                               // 000000005F38: D1FF0010 02062774
	v_cndmask_b32_e64 v4, v16, v18, s[46:47]                   // 000000005F40: D1000004 00BA2510
	v_cmp_u_f32_e64 s[46:47], v117, v117                       // 000000005F48: D048002E 0002EB75
	v_add3_u32 v16, v117, v19, 1                               // 000000005F50: D1FF0010 02062775
	v_cndmask_b32_e64 v5, v16, v18, s[46:47]                   // 000000005F58: D1000005 00BA2510
	v_perm_b32 v86, v5, v4, s52                                // 000000005F60: D1ED0056 00D20905
	v_cmp_u_f32_e64 s[46:47], v118, v118                       // 000000005F68: D048002E 0002ED76
	v_add3_u32 v16, v118, v19, 1                               // 000000005F70: D1FF0010 02062776
	v_cndmask_b32_e64 v4, v16, v18, s[46:47]                   // 000000005F78: D1000004 00BA2510
	v_cmp_u_f32_e64 s[46:47], v119, v119                       // 000000005F80: D048002E 0002EF77
	v_add3_u32 v16, v119, v19, 1                               // 000000005F88: D1FF0010 02062777
	v_cndmask_b32_e64 v5, v16, v18, s[46:47]                   // 000000005F90: D1000005 00BA2510
	v_perm_b32 v87, v5, v4, s52                                // 000000005F98: D1ED0057 00D20905
	ds_write_b64 v20, v[56:57]                                 // 000000005FA0: D89A0000 00003814
	ds_write_b64 v20, v[58:59] offset:8704                     // 000000005FA8: D89A2200 00003A14
	ds_write_b64 v20, v[60:61] offset:17408                    // 000000005FB0: D89A4400 00003C14
	ds_write_b64 v20, v[62:63] offset:26112                    // 000000005FB8: D89A6600 00003E14
	ds_write_b64 v20, v[64:65] offset:2176                     // 000000005FC0: D89A0880 00004014
	ds_write_b64 v20, v[66:67] offset:10880                    // 000000005FC8: D89A2A80 00004214
	ds_write_b64 v20, v[68:69] offset:19584                    // 000000005FD0: D89A4C80 00004414
	ds_write_b64 v20, v[70:71] offset:28288                    // 000000005FD8: D89A6E80 00004614
	ds_write_b64 v20, v[72:73] offset:4352                     // 000000005FE0: D89A1100 00004814
	ds_write_b64 v20, v[74:75] offset:13056                    // 000000005FE8: D89A3300 00004A14
	ds_write_b64 v20, v[76:77] offset:21760                    // 000000005FF0: D89A5500 00004C14
	ds_write_b64 v20, v[78:79] offset:30464                    // 000000005FF8: D89A7700 00004E14
	ds_write_b64 v20, v[80:81] offset:6528                     // 000000006000: D89A1980 00005014
	ds_write_b64 v20, v[82:83] offset:15232                    // 000000006008: D89A3B80 00005214
	ds_write_b64 v20, v[84:85] offset:23936                    // 000000006010: D89A5D80 00005414
	ds_write_b64 v20, v[86:87] offset:32640                    // 000000006018: D89A7F80 00005614
	v_lshrrev_b32_e32 v4, 5, v0                                // 000000006020: 20080085
	v_xor_b32_e32 v5, 1, v4                                    // 000000006024: 2A0A0881
	s_mul_i32 s60, s65, 2                                      // 000000006028: 923C8241
	s_cmp_eq_u32 s88, 0                                        // 00000000602C: BF068058
	s_cselect_b32 s61, 1, 4                                    // 000000006030: 853D8481
	s_mul_i32 s60, s61, s60                                    // 000000006034: 923C3C3D
	v_readlane_b32 s82, v3, 0                                  // 000000006038: D2890052 00010103
	s_lshr_b32 s61, s82, 24                                    // 000000006040: 8F3D9852
	s_and_b32 s82, s82, 0xffffff                               // 000000006044: 8652FF52 00FFFFFF
	s_mul_i32 s82, s82, s71                                    // 00000000604C: 92524752
	s_mul_i32 s61, s60, s61                                    // 000000006050: 923D3D3C
	s_add_u32 s82, s82, s61                                    // 000000006054: 80523D52
	v_mul_lo_u32 v6, v5, s82                                   // 000000006058: D2850006 0000A505
	v_readlane_b32 s82, v3, 1                                  // 000000006060: D2890052 00010303
	s_lshr_b32 s61, s82, 24                                    // 000000006068: 8F3D9852
	s_and_b32 s82, s82, 0xffffff                               // 00000000606C: 8652FF52 00FFFFFF
	s_mul_i32 s82, s82, s71                                    // 000000006074: 92524752
	s_mul_i32 s61, s60, s61                                    // 000000006078: 923D3D3C
	s_add_u32 s82, s82, s61                                    // 00000000607C: 80523D52
	v_mul_lo_u32 v7, v4, s82                                   // 000000006080: D2850007 0000A504
	v_add_u32_e32 v44, v6, v7                                  // 000000006088: 68580F06
	v_readlane_b32 s82, v3, 2                                  // 00000000608C: D2890052 00010503
	s_lshr_b32 s61, s82, 24                                    // 000000006094: 8F3D9852
	s_and_b32 s82, s82, 0xffffff                               // 000000006098: 8652FF52 00FFFFFF
	s_mul_i32 s82, s82, s71                                    // 0000000060A0: 92524752
	s_mul_i32 s61, s60, s61                                    // 0000000060A4: 923D3D3C
	s_add_u32 s82, s82, s61                                    // 0000000060A8: 80523D52
	v_mul_lo_u32 v6, v5, s82                                   // 0000000060AC: D2850006 0000A505
	v_readlane_b32 s82, v3, 3                                  // 0000000060B4: D2890052 00010703
	s_lshr_b32 s61, s82, 24                                    // 0000000060BC: 8F3D9852
	s_and_b32 s82, s82, 0xffffff                               // 0000000060C0: 8652FF52 00FFFFFF
	s_mul_i32 s82, s82, s71                                    // 0000000060C8: 92524752
	s_mul_i32 s61, s60, s61                                    // 0000000060CC: 923D3D3C
	s_add_u32 s82, s82, s61                                    // 0000000060D0: 80523D52
	v_mul_lo_u32 v7, v4, s82                                   // 0000000060D4: D2850007 0000A504
	v_add_u32_e32 v45, v6, v7                                  // 0000000060DC: 685A0F06
	v_readlane_b32 s82, v3, 4                                  // 0000000060E0: D2890052 00010903
	s_lshr_b32 s61, s82, 24                                    // 0000000060E8: 8F3D9852
	s_and_b32 s82, s82, 0xffffff                               // 0000000060EC: 8652FF52 00FFFFFF
	s_mul_i32 s82, s82, s71                                    // 0000000060F4: 92524752
	s_mul_i32 s61, s60, s61                                    // 0000000060F8: 923D3D3C
	s_add_u32 s82, s82, s61                                    // 0000000060FC: 80523D52
	v_mul_lo_u32 v6, v5, s82                                   // 000000006100: D2850006 0000A505
	v_readlane_b32 s82, v3, 5                                  // 000000006108: D2890052 00010B03
	s_lshr_b32 s61, s82, 24                                    // 000000006110: 8F3D9852
	s_and_b32 s82, s82, 0xffffff                               // 000000006114: 8652FF52 00FFFFFF
	s_mul_i32 s82, s82, s71                                    // 00000000611C: 92524752
	s_mul_i32 s61, s60, s61                                    // 000000006120: 923D3D3C
	s_add_u32 s82, s82, s61                                    // 000000006124: 80523D52
	v_mul_lo_u32 v7, v4, s82                                   // 000000006128: D2850007 0000A504
	v_add_u32_e32 v46, v6, v7                                  // 000000006130: 685C0F06
	v_readlane_b32 s82, v3, 6                                  // 000000006134: D2890052 00010D03
	s_lshr_b32 s61, s82, 24                                    // 00000000613C: 8F3D9852
	s_and_b32 s82, s82, 0xffffff                               // 000000006140: 8652FF52 00FFFFFF
	s_mul_i32 s82, s82, s71                                    // 000000006148: 92524752
	s_mul_i32 s61, s60, s61                                    // 00000000614C: 923D3D3C
	s_add_u32 s82, s82, s61                                    // 000000006150: 80523D52
	v_mul_lo_u32 v6, v5, s82                                   // 000000006154: D2850006 0000A505
	v_readlane_b32 s82, v3, 7                                  // 00000000615C: D2890052 00010F03
	s_lshr_b32 s61, s82, 24                                    // 000000006164: 8F3D9852
	s_and_b32 s82, s82, 0xffffff                               // 000000006168: 8652FF52 00FFFFFF
	s_mul_i32 s82, s82, s71                                    // 000000006170: 92524752
	s_mul_i32 s61, s60, s61                                    // 000000006174: 923D3D3C
	s_add_u32 s82, s82, s61                                    // 000000006178: 80523D52
	v_mul_lo_u32 v7, v4, s82                                   // 00000000617C: D2850007 0000A504
	v_add_u32_e32 v47, v6, v7                                  // 000000006184: 685E0F06
	v_readlane_b32 s82, v3, 8                                  // 000000006188: D2890052 00011103
	s_lshr_b32 s61, s82, 24                                    // 000000006190: 8F3D9852
	s_and_b32 s82, s82, 0xffffff                               // 000000006194: 8652FF52 00FFFFFF
	s_mul_i32 s82, s82, s71                                    // 00000000619C: 92524752
	s_mul_i32 s61, s60, s61                                    // 0000000061A0: 923D3D3C
	s_add_u32 s82, s82, s61                                    // 0000000061A4: 80523D52
	v_mul_lo_u32 v6, v5, s82                                   // 0000000061A8: D2850006 0000A505
	v_readlane_b32 s82, v3, 9                                  // 0000000061B0: D2890052 00011303
	s_lshr_b32 s61, s82, 24                                    // 0000000061B8: 8F3D9852
	s_and_b32 s82, s82, 0xffffff                               // 0000000061BC: 8652FF52 00FFFFFF
	s_mul_i32 s82, s82, s71                                    // 0000000061C4: 92524752
	s_mul_i32 s61, s60, s61                                    // 0000000061C8: 923D3D3C
	s_add_u32 s82, s82, s61                                    // 0000000061CC: 80523D52
	v_mul_lo_u32 v7, v4, s82                                   // 0000000061D0: D2850007 0000A504
	v_add_u32_e32 v48, v6, v7                                  // 0000000061D8: 68600F06
	v_readlane_b32 s82, v3, 10                                 // 0000000061DC: D2890052 00011503
	s_lshr_b32 s61, s82, 24                                    // 0000000061E4: 8F3D9852
	s_and_b32 s82, s82, 0xffffff                               // 0000000061E8: 8652FF52 00FFFFFF
	s_mul_i32 s82, s82, s71                                    // 0000000061F0: 92524752
	s_mul_i32 s61, s60, s61                                    // 0000000061F4: 923D3D3C
	s_add_u32 s82, s82, s61                                    // 0000000061F8: 80523D52
	v_mul_lo_u32 v6, v5, s82                                   // 0000000061FC: D2850006 0000A505
	v_readlane_b32 s82, v3, 11                                 // 000000006204: D2890052 00011703
	s_lshr_b32 s61, s82, 24                                    // 00000000620C: 8F3D9852
	s_and_b32 s82, s82, 0xffffff                               // 000000006210: 8652FF52 00FFFFFF
	s_mul_i32 s82, s82, s71                                    // 000000006218: 92524752
	s_mul_i32 s61, s60, s61                                    // 00000000621C: 923D3D3C
	s_add_u32 s82, s82, s61                                    // 000000006220: 80523D52
	v_mul_lo_u32 v7, v4, s82                                   // 000000006224: D2850007 0000A504
	v_add_u32_e32 v49, v6, v7                                  // 00000000622C: 68620F06
	v_readlane_b32 s82, v3, 12                                 // 000000006230: D2890052 00011903
	s_lshr_b32 s61, s82, 24                                    // 000000006238: 8F3D9852
	s_and_b32 s82, s82, 0xffffff                               // 00000000623C: 8652FF52 00FFFFFF
	s_mul_i32 s82, s82, s71                                    // 000000006244: 92524752
	s_mul_i32 s61, s60, s61                                    // 000000006248: 923D3D3C
	s_add_u32 s82, s82, s61                                    // 00000000624C: 80523D52
	v_mul_lo_u32 v6, v5, s82                                   // 000000006250: D2850006 0000A505
	v_readlane_b32 s82, v3, 13                                 // 000000006258: D2890052 00011B03
	s_lshr_b32 s61, s82, 24                                    // 000000006260: 8F3D9852
	s_and_b32 s82, s82, 0xffffff                               // 000000006264: 8652FF52 00FFFFFF
	s_mul_i32 s82, s82, s71                                    // 00000000626C: 92524752
	s_mul_i32 s61, s60, s61                                    // 000000006270: 923D3D3C
	s_add_u32 s82, s82, s61                                    // 000000006274: 80523D52
	v_mul_lo_u32 v7, v4, s82                                   // 000000006278: D2850007 0000A504
	v_add_u32_e32 v50, v6, v7                                  // 000000006280: 68640F06
	v_readlane_b32 s82, v3, 14                                 // 000000006284: D2890052 00011D03
	s_lshr_b32 s61, s82, 24                                    // 00000000628C: 8F3D9852
	s_and_b32 s82, s82, 0xffffff                               // 000000006290: 8652FF52 00FFFFFF
	s_mul_i32 s82, s82, s71                                    // 000000006298: 92524752
	s_mul_i32 s61, s60, s61                                    // 00000000629C: 923D3D3C
	s_add_u32 s82, s82, s61                                    // 0000000062A0: 80523D52
	v_mul_lo_u32 v6, v5, s82                                   // 0000000062A4: D2850006 0000A505
	v_readlane_b32 s82, v3, 15                                 // 0000000062AC: D2890052 00011F03
	s_lshr_b32 s61, s82, 24                                    // 0000000062B4: 8F3D9852
	s_and_b32 s82, s82, 0xffffff                               // 0000000062B8: 8652FF52 00FFFFFF
	s_mul_i32 s82, s82, s71                                    // 0000000062C0: 92524752
	s_mul_i32 s61, s60, s61                                    // 0000000062C4: 923D3D3C
	s_add_u32 s82, s82, s61                                    // 0000000062C8: 80523D52
	v_mul_lo_u32 v7, v4, s82                                   // 0000000062CC: D2850007 0000A504
	v_add_u32_e32 v51, v6, v7                                  // 0000000062D4: 68660F06
	v_and_b32_e32 v4, 31, v0                                   // 0000000062D8: 2608009F
	v_lshrrev_b32_e32 v4, 1, v4                                // 0000000062DC: 20080881
	s_cmp_eq_u32 s88, 0                                        // 0000000062E0: BF068058
	s_cselect_b32 s61, 2, 4                                    // 0000000062E4: 853D8482
	v_mul_lo_u32 v4, v4, s61                                   // 0000000062E8: D2850004 00007B04
	v_and_b32_e64 v5, v0, 1                                    // 0000000062F0: D1130005 00010300
	v_add_u32_e32 v4, v4, v5                                   // 0000000062F8: 68080B04
	v_lshlrev_b32_e32 v4, 2, v4                                // 0000000062FC: 24080882
	v_add_u32_e32 v44, v44, v4                                 // 000000006300: 6858092C
	v_add_u32_e32 v45, v45, v4                                 // 000000006304: 685A092D
	v_add_u32_e32 v46, v46, v4                                 // 000000006308: 685C092E
	v_add_u32_e32 v47, v47, v4                                 // 00000000630C: 685E092F
	v_add_u32_e32 v48, v48, v4                                 // 000000006310: 68600930
	v_add_u32_e32 v49, v49, v4                                 // 000000006314: 68620931
	;; [unrolled: 1-line block ×3, first 2 shown]
	v_add_u32_e32 v51, v51, v4                                 // 00000000631C: 68660933
	s_waitcnt lgkmcnt(0)                                       // 000000006320: BF8CC07F
	s_barrier                                                  // 000000006324: BF8A0000
	ds_read_b32 v56, v21                                       // 000000006328: D86C0000 38000015
	ds_read_b32 v57, v21 offset:64                             // 000000006330: D86C0040 39000015
	ds_read_b32 v58, v21 offset:2176                           // 000000006338: D86C0880 3A000015
	ds_read_b32 v59, v21 offset:2240                           // 000000006340: D86C08C0 3B000015
	ds_read_b32 v60, v21 offset:4352                           // 000000006348: D86C1100 3C000015
	ds_read_b32 v61, v21 offset:4416                           // 000000006350: D86C1140 3D000015
	ds_read_b32 v62, v21 offset:6528                           // 000000006358: D86C1980 3E000015
	ds_read_b32 v63, v21 offset:6592                           // 000000006360: D86C19C0 3F000015
	ds_read_b32 v64, v21 offset:8704                           // 000000006368: D86C2200 40000015
	ds_read_b32 v65, v21 offset:8768                           // 000000006370: D86C2240 41000015
	ds_read_b32 v66, v21 offset:10880                          // 000000006378: D86C2A80 42000015
	ds_read_b32 v67, v21 offset:10944                          // 000000006380: D86C2AC0 43000015
	ds_read_b32 v68, v21 offset:13056                          // 000000006388: D86C3300 44000015
	ds_read_b32 v69, v21 offset:13120                          // 000000006390: D86C3340 45000015
	ds_read_b32 v70, v21 offset:15232                          // 000000006398: D86C3B80 46000015
	ds_read_b32 v71, v21 offset:15296                          // 0000000063A0: D86C3BC0 47000015
	ds_read_b32 v72, v21 offset:17408                          // 0000000063A8: D86C4400 48000015
	ds_read_b32 v73, v21 offset:17472                          // 0000000063B0: D86C4440 49000015
	ds_read_b32 v74, v21 offset:19584                          // 0000000063B8: D86C4C80 4A000015
	ds_read_b32 v75, v21 offset:19648                          // 0000000063C0: D86C4CC0 4B000015
	ds_read_b32 v76, v21 offset:21760                          // 0000000063C8: D86C5500 4C000015
	ds_read_b32 v77, v21 offset:21824                          // 0000000063D0: D86C5540 4D000015
	ds_read_b32 v78, v21 offset:23936                          // 0000000063D8: D86C5D80 4E000015
	ds_read_b32 v79, v21 offset:24000                          // 0000000063E0: D86C5DC0 4F000015
	ds_read_b32 v80, v21 offset:26112                          // 0000000063E8: D86C6600 50000015
	ds_read_b32 v81, v21 offset:26176                          // 0000000063F0: D86C6640 51000015
	ds_read_b32 v82, v21 offset:28288                          // 0000000063F8: D86C6E80 52000015
	ds_read_b32 v83, v21 offset:28352                          // 000000006400: D86C6EC0 53000015
	ds_read_b32 v84, v21 offset:30464                          // 000000006408: D86C7700 54000015
	ds_read_b32 v85, v21 offset:30528                          // 000000006410: D86C7740 55000015
	ds_read_b32 v86, v21 offset:32640                          // 000000006418: D86C7F80 56000015
	ds_read_b32 v87, v21 offset:32704                          // 000000006420: D86C7FC0 57000015
	s_waitcnt lgkmcnt(0)                                       // 000000006428: BF8CC07F
	s_mov_b32 s36, -1                                          // 00000000642C: BEA400C1
	s_mov_b32 s37, -1                                          // 000000006430: BEA500C1
	v_mov_b32_e32 v7, 0                                        // 000000006434: 7E0E0280
	s_or_b32 s9, s9, 0x40000                                   // 000000006438: 8709FF09 00040000
	s_mov_b64 exec, s[36:37]                                   // 000000006440: BEFE0124
	v_mov_b32_e32 v6, v44                                      // 000000006444: 7E0C032C
	s_mov_b64 s[60:61], 0                                      // 000000006448: BEBC0180
	v_readlane_b32 s82, v3, 0                                  // 00000000644C: D2890052 00010103
	s_and_b32 s82, s82, 0xffffff                               // 000000006454: 8652FF52 00FFFFFF
	s_cmp_lt_u32 s82, s66                                      // 00000000645C: BF0A4252
	s_cselect_b32 s20, s36, s60                                // 000000006460: 85143C24
	v_readlane_b32 s82, v3, 1                                  // 000000006464: D2890052 00010303
	s_and_b32 s82, s82, 0xffffff                               // 00000000646C: 8652FF52 00FFFFFF
	s_cmp_lt_u32 s82, s66                                      // 000000006474: BF0A4252
	s_cselect_b32 s21, s36, s60                                // 000000006478: 85153C24
	s_mov_b64 exec, s[20:21]                                   // 00000000647C: BEFE0114
	buffer_store_dword v56, v6, s[8:11], 0 offen               // 000000006480: E0701000 80023806
	buffer_store_dword v58, v6, s[8:11], 0 offen offset:128    // 000000006488: E0701080 80023A06
	buffer_store_dword v60, v6, s[8:11], 0 offen offset:256    // 000000006490: E0701100 80023C06
	buffer_store_dword v62, v6, s[8:11], 0 offen offset:384    // 000000006498: E0701180 80023E06
	s_mov_b64 exec, s[36:37]                                   // 0000000064A0: BEFE0124
	v_mov_b32_e32 v6, v45                                      // 0000000064A4: 7E0C032D
	s_mov_b64 s[60:61], 0                                      // 0000000064A8: BEBC0180
	v_readlane_b32 s82, v3, 2                                  // 0000000064AC: D2890052 00010503
	s_and_b32 s82, s82, 0xffffff                               // 0000000064B4: 8652FF52 00FFFFFF
	s_cmp_lt_u32 s82, s66                                      // 0000000064BC: BF0A4252
	s_cselect_b32 s20, s36, s60                                // 0000000064C0: 85143C24
	v_readlane_b32 s82, v3, 3                                  // 0000000064C4: D2890052 00010703
	s_and_b32 s82, s82, 0xffffff                               // 0000000064CC: 8652FF52 00FFFFFF
	s_cmp_lt_u32 s82, s66                                      // 0000000064D4: BF0A4252
	s_cselect_b32 s21, s36, s60                                // 0000000064D8: 85153C24
	s_mov_b64 exec, s[20:21]                                   // 0000000064DC: BEFE0114
	buffer_store_dword v57, v6, s[8:11], 0 offen               // 0000000064E0: E0701000 80023906
	buffer_store_dword v59, v6, s[8:11], 0 offen offset:128    // 0000000064E8: E0701080 80023B06
	buffer_store_dword v61, v6, s[8:11], 0 offen offset:256    // 0000000064F0: E0701100 80023D06
	buffer_store_dword v63, v6, s[8:11], 0 offen offset:384    // 0000000064F8: E0701180 80023F06
	s_mov_b64 exec, s[36:37]                                   // 000000006500: BEFE0124
	v_mov_b32_e32 v6, v46                                      // 000000006504: 7E0C032E
	s_mov_b64 s[60:61], 0                                      // 000000006508: BEBC0180
	v_readlane_b32 s82, v3, 4                                  // 00000000650C: D2890052 00010903
	s_and_b32 s82, s82, 0xffffff                               // 000000006514: 8652FF52 00FFFFFF
	s_cmp_lt_u32 s82, s66                                      // 00000000651C: BF0A4252
	s_cselect_b32 s20, s36, s60                                // 000000006520: 85143C24
	v_readlane_b32 s82, v3, 5                                  // 000000006524: D2890052 00010B03
	s_and_b32 s82, s82, 0xffffff                               // 00000000652C: 8652FF52 00FFFFFF
	s_cmp_lt_u32 s82, s66                                      // 000000006534: BF0A4252
	s_cselect_b32 s21, s36, s60                                // 000000006538: 85153C24
	s_mov_b64 exec, s[20:21]                                   // 00000000653C: BEFE0114
	buffer_store_dword v64, v6, s[8:11], 0 offen               // 000000006540: E0701000 80024006
	buffer_store_dword v66, v6, s[8:11], 0 offen offset:128    // 000000006548: E0701080 80024206
	buffer_store_dword v68, v6, s[8:11], 0 offen offset:256    // 000000006550: E0701100 80024406
	buffer_store_dword v70, v6, s[8:11], 0 offen offset:384    // 000000006558: E0701180 80024606
	s_mov_b64 exec, s[36:37]                                   // 000000006560: BEFE0124
	v_mov_b32_e32 v6, v47                                      // 000000006564: 7E0C032F
	s_mov_b64 s[60:61], 0                                      // 000000006568: BEBC0180
	v_readlane_b32 s82, v3, 6                                  // 00000000656C: D2890052 00010D03
	s_and_b32 s82, s82, 0xffffff                               // 000000006574: 8652FF52 00FFFFFF
	s_cmp_lt_u32 s82, s66                                      // 00000000657C: BF0A4252
	s_cselect_b32 s20, s36, s60                                // 000000006580: 85143C24
	v_readlane_b32 s82, v3, 7                                  // 000000006584: D2890052 00010F03
	s_and_b32 s82, s82, 0xffffff                               // 00000000658C: 8652FF52 00FFFFFF
	s_cmp_lt_u32 s82, s66                                      // 000000006594: BF0A4252
	s_cselect_b32 s21, s36, s60                                // 000000006598: 85153C24
	s_mov_b64 exec, s[20:21]                                   // 00000000659C: BEFE0114
	buffer_store_dword v65, v6, s[8:11], 0 offen               // 0000000065A0: E0701000 80024106
	buffer_store_dword v67, v6, s[8:11], 0 offen offset:128    // 0000000065A8: E0701080 80024306
	buffer_store_dword v69, v6, s[8:11], 0 offen offset:256    // 0000000065B0: E0701100 80024506
	buffer_store_dword v71, v6, s[8:11], 0 offen offset:384    // 0000000065B8: E0701180 80024706
	s_mov_b64 exec, s[36:37]                                   // 0000000065C0: BEFE0124
	v_mov_b32_e32 v6, v48                                      // 0000000065C4: 7E0C0330
	s_mov_b64 s[60:61], 0                                      // 0000000065C8: BEBC0180
	v_readlane_b32 s82, v3, 8                                  // 0000000065CC: D2890052 00011103
	s_and_b32 s82, s82, 0xffffff                               // 0000000065D4: 8652FF52 00FFFFFF
	s_cmp_lt_u32 s82, s66                                      // 0000000065DC: BF0A4252
	s_cselect_b32 s20, s36, s60                                // 0000000065E0: 85143C24
	v_readlane_b32 s82, v3, 9                                  // 0000000065E4: D2890052 00011303
	s_and_b32 s82, s82, 0xffffff                               // 0000000065EC: 8652FF52 00FFFFFF
	s_cmp_lt_u32 s82, s66                                      // 0000000065F4: BF0A4252
	s_cselect_b32 s21, s36, s60                                // 0000000065F8: 85153C24
	s_mov_b64 exec, s[20:21]                                   // 0000000065FC: BEFE0114
	buffer_store_dword v72, v6, s[8:11], 0 offen               // 000000006600: E0701000 80024806
	buffer_store_dword v74, v6, s[8:11], 0 offen offset:128    // 000000006608: E0701080 80024A06
	buffer_store_dword v76, v6, s[8:11], 0 offen offset:256    // 000000006610: E0701100 80024C06
	buffer_store_dword v78, v6, s[8:11], 0 offen offset:384    // 000000006618: E0701180 80024E06
	s_mov_b64 exec, s[36:37]                                   // 000000006620: BEFE0124
	v_mov_b32_e32 v6, v49                                      // 000000006624: 7E0C0331
	s_mov_b64 s[60:61], 0                                      // 000000006628: BEBC0180
	v_readlane_b32 s82, v3, 10                                 // 00000000662C: D2890052 00011503
	s_and_b32 s82, s82, 0xffffff                               // 000000006634: 8652FF52 00FFFFFF
	s_cmp_lt_u32 s82, s66                                      // 00000000663C: BF0A4252
	s_cselect_b32 s20, s36, s60                                // 000000006640: 85143C24
	v_readlane_b32 s82, v3, 11                                 // 000000006644: D2890052 00011703
	s_and_b32 s82, s82, 0xffffff                               // 00000000664C: 8652FF52 00FFFFFF
	s_cmp_lt_u32 s82, s66                                      // 000000006654: BF0A4252
	s_cselect_b32 s21, s36, s60                                // 000000006658: 85153C24
	s_mov_b64 exec, s[20:21]                                   // 00000000665C: BEFE0114
	buffer_store_dword v73, v6, s[8:11], 0 offen               // 000000006660: E0701000 80024906
	buffer_store_dword v75, v6, s[8:11], 0 offen offset:128    // 000000006668: E0701080 80024B06
	buffer_store_dword v77, v6, s[8:11], 0 offen offset:256    // 000000006670: E0701100 80024D06
	buffer_store_dword v79, v6, s[8:11], 0 offen offset:384    // 000000006678: E0701180 80024F06
	s_mov_b64 exec, s[36:37]                                   // 000000006680: BEFE0124
	v_mov_b32_e32 v6, v50                                      // 000000006684: 7E0C0332
	s_mov_b64 s[60:61], 0                                      // 000000006688: BEBC0180
	v_readlane_b32 s82, v3, 12                                 // 00000000668C: D2890052 00011903
	s_and_b32 s82, s82, 0xffffff                               // 000000006694: 8652FF52 00FFFFFF
	s_cmp_lt_u32 s82, s66                                      // 00000000669C: BF0A4252
	s_cselect_b32 s20, s36, s60                                // 0000000066A0: 85143C24
	v_readlane_b32 s82, v3, 13                                 // 0000000066A4: D2890052 00011B03
	s_and_b32 s82, s82, 0xffffff                               // 0000000066AC: 8652FF52 00FFFFFF
	s_cmp_lt_u32 s82, s66                                      // 0000000066B4: BF0A4252
	s_cselect_b32 s21, s36, s60                                // 0000000066B8: 85153C24
	s_mov_b64 exec, s[20:21]                                   // 0000000066BC: BEFE0114
	buffer_store_dword v80, v6, s[8:11], 0 offen               // 0000000066C0: E0701000 80025006
	buffer_store_dword v82, v6, s[8:11], 0 offen offset:128    // 0000000066C8: E0701080 80025206
	buffer_store_dword v84, v6, s[8:11], 0 offen offset:256    // 0000000066D0: E0701100 80025406
	buffer_store_dword v86, v6, s[8:11], 0 offen offset:384    // 0000000066D8: E0701180 80025606
	s_mov_b64 exec, s[36:37]                                   // 0000000066E0: BEFE0124
	v_mov_b32_e32 v6, v51                                      // 0000000066E4: 7E0C0333
	s_mov_b64 s[60:61], 0                                      // 0000000066E8: BEBC0180
	v_readlane_b32 s82, v3, 14                                 // 0000000066EC: D2890052 00011D03
	s_and_b32 s82, s82, 0xffffff                               // 0000000066F4: 8652FF52 00FFFFFF
	s_cmp_lt_u32 s82, s66                                      // 0000000066FC: BF0A4252
	s_cselect_b32 s20, s36, s60                                // 000000006700: 85143C24
	v_readlane_b32 s82, v3, 15                                 // 000000006704: D2890052 00011F03
	s_and_b32 s82, s82, 0xffffff                               // 00000000670C: 8652FF52 00FFFFFF
	s_cmp_lt_u32 s82, s66                                      // 000000006714: BF0A4252
	s_cselect_b32 s21, s36, s60                                // 000000006718: 85153C24
	s_mov_b64 exec, s[20:21]                                   // 00000000671C: BEFE0114
	buffer_store_dword v81, v6, s[8:11], 0 offen               // 000000006720: E0701000 80025106
	buffer_store_dword v83, v6, s[8:11], 0 offen offset:128    // 000000006728: E0701080 80025306
	buffer_store_dword v85, v6, s[8:11], 0 offen offset:256    // 000000006730: E0701100 80025506
	buffer_store_dword v87, v6, s[8:11], 0 offen offset:384    // 000000006738: E0701180 80025706
	s_mov_b64 exec, s[36:37]                                   // 000000006740: BEFE0124
	s_branch label_269D                                        // 000000006744: BF821748

0000000000006748 <label_0F52>:
	ds_write_b64 v20, v[56:57]                                 // 000000006748: D89A0000 00003814
	ds_write_b64 v20, v[60:61] offset:8704                     // 000000006750: D89A2200 00003C14
	ds_write_b64 v20, v[64:65] offset:17408                    // 000000006758: D89A4400 00004014
	ds_write_b64 v20, v[68:69] offset:26112                    // 000000006760: D89A6600 00004414
	ds_write_b64 v20, v[72:73] offset:2176                     // 000000006768: D89A0880 00004814
	ds_write_b64 v20, v[76:77] offset:10880                    // 000000006770: D89A2A80 00004C14
	ds_write_b64 v20, v[80:81] offset:19584                    // 000000006778: D89A4C80 00005014
	ds_write_b64 v20, v[84:85] offset:28288                    // 000000006780: D89A6E80 00005414
	ds_write_b64 v20, v[88:89] offset:4352                     // 000000006788: D89A1100 00005814
	ds_write_b64 v20, v[92:93] offset:13056                    // 000000006790: D89A3300 00005C14
	ds_write_b64 v20, v[96:97] offset:21760                    // 000000006798: D89A5500 00006014
	ds_write_b64 v20, v[100:101] offset:30464                  // 0000000067A0: D89A7700 00006414
	ds_write_b64 v20, v[104:105] offset:6528                   // 0000000067A8: D89A1980 00006814
	ds_write_b64 v20, v[108:109] offset:15232                  // 0000000067B0: D89A3B80 00006C14
	ds_write_b64 v20, v[112:113] offset:23936                  // 0000000067B8: D89A5D80 00007014
	ds_write_b64 v20, v[116:117] offset:32640                  // 0000000067C0: D89A7F80 00007414
	v_lshrrev_b32_e32 v4, 5, v0                                // 0000000067C8: 20080085
	v_xor_b32_e32 v5, 1, v4                                    // 0000000067CC: 2A0A0881
	s_mul_i32 s60, s65, 2                                      // 0000000067D0: 923C8241
	s_cmp_eq_u32 s88, 0                                        // 0000000067D4: BF068058
	s_cselect_b32 s61, 1, 4                                    // 0000000067D8: 853D8481
	s_mul_i32 s60, s61, s60                                    // 0000000067DC: 923C3C3D
	v_readlane_b32 s82, v3, 0                                  // 0000000067E0: D2890052 00010103
	s_lshr_b32 s61, s82, 24                                    // 0000000067E8: 8F3D9852
	s_and_b32 s82, s82, 0xffffff                               // 0000000067EC: 8652FF52 00FFFFFF
	s_mul_i32 s82, s82, s71                                    // 0000000067F4: 92524752
	s_mul_i32 s61, s60, s61                                    // 0000000067F8: 923D3D3C
	s_add_u32 s82, s82, s61                                    // 0000000067FC: 80523D52
	v_mul_lo_u32 v6, v5, s82                                   // 000000006800: D2850006 0000A505
	v_readlane_b32 s82, v3, 1                                  // 000000006808: D2890052 00010303
	s_lshr_b32 s61, s82, 24                                    // 000000006810: 8F3D9852
	s_and_b32 s82, s82, 0xffffff                               // 000000006814: 8652FF52 00FFFFFF
	s_mul_i32 s82, s82, s71                                    // 00000000681C: 92524752
	s_mul_i32 s61, s60, s61                                    // 000000006820: 923D3D3C
	s_add_u32 s82, s82, s61                                    // 000000006824: 80523D52
	v_mul_lo_u32 v7, v4, s82                                   // 000000006828: D2850007 0000A504
	v_add_u32_e32 v44, v6, v7                                  // 000000006830: 68580F06
	v_readlane_b32 s82, v3, 2                                  // 000000006834: D2890052 00010503
	s_lshr_b32 s61, s82, 24                                    // 00000000683C: 8F3D9852
	s_and_b32 s82, s82, 0xffffff                               // 000000006840: 8652FF52 00FFFFFF
	s_mul_i32 s82, s82, s71                                    // 000000006848: 92524752
	s_mul_i32 s61, s60, s61                                    // 00000000684C: 923D3D3C
	s_add_u32 s82, s82, s61                                    // 000000006850: 80523D52
	v_mul_lo_u32 v6, v5, s82                                   // 000000006854: D2850006 0000A505
	v_readlane_b32 s82, v3, 3                                  // 00000000685C: D2890052 00010703
	s_lshr_b32 s61, s82, 24                                    // 000000006864: 8F3D9852
	s_and_b32 s82, s82, 0xffffff                               // 000000006868: 8652FF52 00FFFFFF
	s_mul_i32 s82, s82, s71                                    // 000000006870: 92524752
	s_mul_i32 s61, s60, s61                                    // 000000006874: 923D3D3C
	s_add_u32 s82, s82, s61                                    // 000000006878: 80523D52
	v_mul_lo_u32 v7, v4, s82                                   // 00000000687C: D2850007 0000A504
	v_add_u32_e32 v45, v6, v7                                  // 000000006884: 685A0F06
	v_readlane_b32 s82, v3, 4                                  // 000000006888: D2890052 00010903
	s_lshr_b32 s61, s82, 24                                    // 000000006890: 8F3D9852
	s_and_b32 s82, s82, 0xffffff                               // 000000006894: 8652FF52 00FFFFFF
	s_mul_i32 s82, s82, s71                                    // 00000000689C: 92524752
	s_mul_i32 s61, s60, s61                                    // 0000000068A0: 923D3D3C
	s_add_u32 s82, s82, s61                                    // 0000000068A4: 80523D52
	v_mul_lo_u32 v6, v5, s82                                   // 0000000068A8: D2850006 0000A505
	v_readlane_b32 s82, v3, 5                                  // 0000000068B0: D2890052 00010B03
	s_lshr_b32 s61, s82, 24                                    // 0000000068B8: 8F3D9852
	s_and_b32 s82, s82, 0xffffff                               // 0000000068BC: 8652FF52 00FFFFFF
	s_mul_i32 s82, s82, s71                                    // 0000000068C4: 92524752
	s_mul_i32 s61, s60, s61                                    // 0000000068C8: 923D3D3C
	s_add_u32 s82, s82, s61                                    // 0000000068CC: 80523D52
	v_mul_lo_u32 v7, v4, s82                                   // 0000000068D0: D2850007 0000A504
	v_add_u32_e32 v46, v6, v7                                  // 0000000068D8: 685C0F06
	v_readlane_b32 s82, v3, 6                                  // 0000000068DC: D2890052 00010D03
	s_lshr_b32 s61, s82, 24                                    // 0000000068E4: 8F3D9852
	s_and_b32 s82, s82, 0xffffff                               // 0000000068E8: 8652FF52 00FFFFFF
	s_mul_i32 s82, s82, s71                                    // 0000000068F0: 92524752
	s_mul_i32 s61, s60, s61                                    // 0000000068F4: 923D3D3C
	s_add_u32 s82, s82, s61                                    // 0000000068F8: 80523D52
	v_mul_lo_u32 v6, v5, s82                                   // 0000000068FC: D2850006 0000A505
	v_readlane_b32 s82, v3, 7                                  // 000000006904: D2890052 00010F03
	s_lshr_b32 s61, s82, 24                                    // 00000000690C: 8F3D9852
	s_and_b32 s82, s82, 0xffffff                               // 000000006910: 8652FF52 00FFFFFF
	s_mul_i32 s82, s82, s71                                    // 000000006918: 92524752
	s_mul_i32 s61, s60, s61                                    // 00000000691C: 923D3D3C
	s_add_u32 s82, s82, s61                                    // 000000006920: 80523D52
	v_mul_lo_u32 v7, v4, s82                                   // 000000006924: D2850007 0000A504
	v_add_u32_e32 v47, v6, v7                                  // 00000000692C: 685E0F06
	v_readlane_b32 s82, v3, 8                                  // 000000006930: D2890052 00011103
	s_lshr_b32 s61, s82, 24                                    // 000000006938: 8F3D9852
	s_and_b32 s82, s82, 0xffffff                               // 00000000693C: 8652FF52 00FFFFFF
	s_mul_i32 s82, s82, s71                                    // 000000006944: 92524752
	s_mul_i32 s61, s60, s61                                    // 000000006948: 923D3D3C
	s_add_u32 s82, s82, s61                                    // 00000000694C: 80523D52
	v_mul_lo_u32 v6, v5, s82                                   // 000000006950: D2850006 0000A505
	v_readlane_b32 s82, v3, 9                                  // 000000006958: D2890052 00011303
	s_lshr_b32 s61, s82, 24                                    // 000000006960: 8F3D9852
	s_and_b32 s82, s82, 0xffffff                               // 000000006964: 8652FF52 00FFFFFF
	s_mul_i32 s82, s82, s71                                    // 00000000696C: 92524752
	s_mul_i32 s61, s60, s61                                    // 000000006970: 923D3D3C
	s_add_u32 s82, s82, s61                                    // 000000006974: 80523D52
	v_mul_lo_u32 v7, v4, s82                                   // 000000006978: D2850007 0000A504
	v_add_u32_e32 v48, v6, v7                                  // 000000006980: 68600F06
	v_readlane_b32 s82, v3, 10                                 // 000000006984: D2890052 00011503
	s_lshr_b32 s61, s82, 24                                    // 00000000698C: 8F3D9852
	s_and_b32 s82, s82, 0xffffff                               // 000000006990: 8652FF52 00FFFFFF
	s_mul_i32 s82, s82, s71                                    // 000000006998: 92524752
	s_mul_i32 s61, s60, s61                                    // 00000000699C: 923D3D3C
	s_add_u32 s82, s82, s61                                    // 0000000069A0: 80523D52
	v_mul_lo_u32 v6, v5, s82                                   // 0000000069A4: D2850006 0000A505
	v_readlane_b32 s82, v3, 11                                 // 0000000069AC: D2890052 00011703
	s_lshr_b32 s61, s82, 24                                    // 0000000069B4: 8F3D9852
	s_and_b32 s82, s82, 0xffffff                               // 0000000069B8: 8652FF52 00FFFFFF
	s_mul_i32 s82, s82, s71                                    // 0000000069C0: 92524752
	s_mul_i32 s61, s60, s61                                    // 0000000069C4: 923D3D3C
	s_add_u32 s82, s82, s61                                    // 0000000069C8: 80523D52
	v_mul_lo_u32 v7, v4, s82                                   // 0000000069CC: D2850007 0000A504
	v_add_u32_e32 v49, v6, v7                                  // 0000000069D4: 68620F06
	v_readlane_b32 s82, v3, 12                                 // 0000000069D8: D2890052 00011903
	s_lshr_b32 s61, s82, 24                                    // 0000000069E0: 8F3D9852
	s_and_b32 s82, s82, 0xffffff                               // 0000000069E4: 8652FF52 00FFFFFF
	s_mul_i32 s82, s82, s71                                    // 0000000069EC: 92524752
	s_mul_i32 s61, s60, s61                                    // 0000000069F0: 923D3D3C
	s_add_u32 s82, s82, s61                                    // 0000000069F4: 80523D52
	v_mul_lo_u32 v6, v5, s82                                   // 0000000069F8: D2850006 0000A505
	v_readlane_b32 s82, v3, 13                                 // 000000006A00: D2890052 00011B03
	s_lshr_b32 s61, s82, 24                                    // 000000006A08: 8F3D9852
	s_and_b32 s82, s82, 0xffffff                               // 000000006A0C: 8652FF52 00FFFFFF
	s_mul_i32 s82, s82, s71                                    // 000000006A14: 92524752
	s_mul_i32 s61, s60, s61                                    // 000000006A18: 923D3D3C
	s_add_u32 s82, s82, s61                                    // 000000006A1C: 80523D52
	v_mul_lo_u32 v7, v4, s82                                   // 000000006A20: D2850007 0000A504
	v_add_u32_e32 v50, v6, v7                                  // 000000006A28: 68640F06
	v_readlane_b32 s82, v3, 14                                 // 000000006A2C: D2890052 00011D03
	s_lshr_b32 s61, s82, 24                                    // 000000006A34: 8F3D9852
	s_and_b32 s82, s82, 0xffffff                               // 000000006A38: 8652FF52 00FFFFFF
	s_mul_i32 s82, s82, s71                                    // 000000006A40: 92524752
	s_mul_i32 s61, s60, s61                                    // 000000006A44: 923D3D3C
	s_add_u32 s82, s82, s61                                    // 000000006A48: 80523D52
	v_mul_lo_u32 v6, v5, s82                                   // 000000006A4C: D2850006 0000A505
	v_readlane_b32 s82, v3, 15                                 // 000000006A54: D2890052 00011F03
	s_lshr_b32 s61, s82, 24                                    // 000000006A5C: 8F3D9852
	s_and_b32 s82, s82, 0xffffff                               // 000000006A60: 8652FF52 00FFFFFF
	s_mul_i32 s82, s82, s71                                    // 000000006A68: 92524752
	s_mul_i32 s61, s60, s61                                    // 000000006A6C: 923D3D3C
	s_add_u32 s82, s82, s61                                    // 000000006A70: 80523D52
	v_mul_lo_u32 v7, v4, s82                                   // 000000006A74: D2850007 0000A504
	v_add_u32_e32 v51, v6, v7                                  // 000000006A7C: 68660F06
	v_and_b32_e32 v4, 31, v0                                   // 000000006A80: 2608009F
	v_lshrrev_b32_e32 v4, 1, v4                                // 000000006A84: 20080881
	s_cmp_eq_u32 s88, 0                                        // 000000006A88: BF068058
	s_cselect_b32 s61, 2, 4                                    // 000000006A8C: 853D8482
	v_mul_lo_u32 v4, v4, s61                                   // 000000006A90: D2850004 00007B04
	v_and_b32_e64 v5, v0, 1                                    // 000000006A98: D1130005 00010300
	v_add_u32_e32 v4, v4, v5                                   // 000000006AA0: 68080B04
	v_lshlrev_b32_e32 v4, 2, v4                                // 000000006AA4: 24080882
	v_add_u32_e32 v44, v44, v4                                 // 000000006AA8: 6858092C
	v_add_u32_e32 v45, v45, v4                                 // 000000006AAC: 685A092D
	v_add_u32_e32 v46, v46, v4                                 // 000000006AB0: 685C092E
	v_add_u32_e32 v47, v47, v4                                 // 000000006AB4: 685E092F
	v_add_u32_e32 v48, v48, v4                                 // 000000006AB8: 68600930
	v_add_u32_e32 v49, v49, v4                                 // 000000006ABC: 68620931
	v_add_u32_e32 v50, v50, v4                                 // 000000006AC0: 68640932
	v_add_u32_e32 v51, v51, v4                                 // 000000006AC4: 68660933
	s_waitcnt lgkmcnt(0)                                       // 000000006AC8: BF8CC07F
	s_barrier                                                  // 000000006ACC: BF8A0000
	ds_read_b32 v56, v21                                       // 000000006AD0: D86C0000 38000015
	ds_read_b32 v57, v21 offset:64                             // 000000006AD8: D86C0040 39000015
	ds_read_b32 v60, v21 offset:2176                           // 000000006AE0: D86C0880 3C000015
	ds_read_b32 v61, v21 offset:2240                           // 000000006AE8: D86C08C0 3D000015
	ds_read_b32 v64, v21 offset:4352                           // 000000006AF0: D86C1100 40000015
	ds_read_b32 v65, v21 offset:4416                           // 000000006AF8: D86C1140 41000015
	ds_read_b32 v68, v21 offset:6528                           // 000000006B00: D86C1980 44000015
	ds_read_b32 v69, v21 offset:6592                           // 000000006B08: D86C19C0 45000015
	ds_read_b32 v72, v21 offset:8704                           // 000000006B10: D86C2200 48000015
	ds_read_b32 v73, v21 offset:8768                           // 000000006B18: D86C2240 49000015
	ds_read_b32 v76, v21 offset:10880                          // 000000006B20: D86C2A80 4C000015
	ds_read_b32 v77, v21 offset:10944                          // 000000006B28: D86C2AC0 4D000015
	ds_read_b32 v80, v21 offset:13056                          // 000000006B30: D86C3300 50000015
	ds_read_b32 v81, v21 offset:13120                          // 000000006B38: D86C3340 51000015
	ds_read_b32 v84, v21 offset:15232                          // 000000006B40: D86C3B80 54000015
	ds_read_b32 v85, v21 offset:15296                          // 000000006B48: D86C3BC0 55000015
	ds_read_b32 v88, v21 offset:17408                          // 000000006B50: D86C4400 58000015
	ds_read_b32 v89, v21 offset:17472                          // 000000006B58: D86C4440 59000015
	ds_read_b32 v92, v21 offset:19584                          // 000000006B60: D86C4C80 5C000015
	ds_read_b32 v93, v21 offset:19648                          // 000000006B68: D86C4CC0 5D000015
	ds_read_b32 v96, v21 offset:21760                          // 000000006B70: D86C5500 60000015
	ds_read_b32 v97, v21 offset:21824                          // 000000006B78: D86C5540 61000015
	ds_read_b32 v100, v21 offset:23936                         // 000000006B80: D86C5D80 64000015
	ds_read_b32 v101, v21 offset:24000                         // 000000006B88: D86C5DC0 65000015
	ds_read_b32 v104, v21 offset:26112                         // 000000006B90: D86C6600 68000015
	ds_read_b32 v105, v21 offset:26176                         // 000000006B98: D86C6640 69000015
	ds_read_b32 v108, v21 offset:28288                         // 000000006BA0: D86C6E80 6C000015
	ds_read_b32 v109, v21 offset:28352                         // 000000006BA8: D86C6EC0 6D000015
	ds_read_b32 v112, v21 offset:30464                         // 000000006BB0: D86C7700 70000015
	ds_read_b32 v113, v21 offset:30528                         // 000000006BB8: D86C7740 71000015
	ds_read_b32 v116, v21 offset:32640                         // 000000006BC0: D86C7F80 74000015
	ds_read_b32 v117, v21 offset:32704                         // 000000006BC8: D86C7FC0 75000015
	s_waitcnt lgkmcnt(0)                                       // 000000006BD0: BF8CC07F
	s_mov_b32 s36, -1                                          // 000000006BD4: BEA400C1
	s_mov_b32 s37, -1                                          // 000000006BD8: BEA500C1
	v_mov_b32_e32 v7, 0                                        // 000000006BDC: 7E0E0280
	s_mov_b64 exec, s[36:37]                                   // 000000006BE0: BEFE0124
	v_mov_b32_e32 v6, v44                                      // 000000006BE4: 7E0C032C
	s_mov_b64 s[60:61], 0                                      // 000000006BE8: BEBC0180
	v_readlane_b32 s82, v3, 0                                  // 000000006BEC: D2890052 00010103
	s_and_b32 s82, s82, 0xffffff                               // 000000006BF4: 8652FF52 00FFFFFF
	s_cmp_lt_u32 s82, s66                                      // 000000006BFC: BF0A4252
	s_cselect_b32 s20, s36, s60                                // 000000006C00: 85143C24
	v_readlane_b32 s82, v3, 1                                  // 000000006C04: D2890052 00010303
	s_and_b32 s82, s82, 0xffffff                               // 000000006C0C: 8652FF52 00FFFFFF
	s_cmp_lt_u32 s82, s66                                      // 000000006C14: BF0A4252
	s_cselect_b32 s21, s36, s60                                // 000000006C18: 85153C24
	s_mov_b64 exec, s[20:21]                                   // 000000006C1C: BEFE0114
	global_atomic_add_f32 v6, v56, s[8:9]                      // 000000006C20: DD348000 00083806
	global_atomic_add_f32 v6, v60, s[8:9] offset:256           // 000000006C28: DD348100 00083C06
	global_atomic_add_f32 v6, v64, s[8:9] offset:512           // 000000006C30: DD348200 00084006
	global_atomic_add_f32 v6, v68, s[8:9] offset:768           // 000000006C38: DD348300 00084406
	s_mov_b64 exec, s[36:37]                                   // 000000006C40: BEFE0124
	v_mov_b32_e32 v6, v45                                      // 000000006C44: 7E0C032D
	s_mov_b64 s[60:61], 0                                      // 000000006C48: BEBC0180
	v_readlane_b32 s82, v3, 2                                  // 000000006C4C: D2890052 00010503
	s_and_b32 s82, s82, 0xffffff                               // 000000006C54: 8652FF52 00FFFFFF
	s_cmp_lt_u32 s82, s66                                      // 000000006C5C: BF0A4252
	s_cselect_b32 s20, s36, s60                                // 000000006C60: 85143C24
	v_readlane_b32 s82, v3, 3                                  // 000000006C64: D2890052 00010703
	s_and_b32 s82, s82, 0xffffff                               // 000000006C6C: 8652FF52 00FFFFFF
	s_cmp_lt_u32 s82, s66                                      // 000000006C74: BF0A4252
	s_cselect_b32 s21, s36, s60                                // 000000006C78: 85153C24
	s_mov_b64 exec, s[20:21]                                   // 000000006C7C: BEFE0114
	global_atomic_add_f32 v6, v57, s[8:9]                      // 000000006C80: DD348000 00083906
	global_atomic_add_f32 v6, v61, s[8:9] offset:256           // 000000006C88: DD348100 00083D06
	global_atomic_add_f32 v6, v65, s[8:9] offset:512           // 000000006C90: DD348200 00084106
	global_atomic_add_f32 v6, v69, s[8:9] offset:768           // 000000006C98: DD348300 00084506
	s_mov_b64 exec, s[36:37]                                   // 000000006CA0: BEFE0124
	v_mov_b32_e32 v6, v46                                      // 000000006CA4: 7E0C032E
	s_mov_b64 s[60:61], 0                                      // 000000006CA8: BEBC0180
	v_readlane_b32 s82, v3, 4                                  // 000000006CAC: D2890052 00010903
	s_and_b32 s82, s82, 0xffffff                               // 000000006CB4: 8652FF52 00FFFFFF
	s_cmp_lt_u32 s82, s66                                      // 000000006CBC: BF0A4252
	s_cselect_b32 s20, s36, s60                                // 000000006CC0: 85143C24
	v_readlane_b32 s82, v3, 5                                  // 000000006CC4: D2890052 00010B03
	s_and_b32 s82, s82, 0xffffff                               // 000000006CCC: 8652FF52 00FFFFFF
	s_cmp_lt_u32 s82, s66                                      // 000000006CD4: BF0A4252
	s_cselect_b32 s21, s36, s60                                // 000000006CD8: 85153C24
	s_mov_b64 exec, s[20:21]                                   // 000000006CDC: BEFE0114
	global_atomic_add_f32 v6, v72, s[8:9]                      // 000000006CE0: DD348000 00084806
	global_atomic_add_f32 v6, v76, s[8:9] offset:256           // 000000006CE8: DD348100 00084C06
	global_atomic_add_f32 v6, v80, s[8:9] offset:512           // 000000006CF0: DD348200 00085006
	global_atomic_add_f32 v6, v84, s[8:9] offset:768           // 000000006CF8: DD348300 00085406
	s_mov_b64 exec, s[36:37]                                   // 000000006D00: BEFE0124
	v_mov_b32_e32 v6, v47                                      // 000000006D04: 7E0C032F
	s_mov_b64 s[60:61], 0                                      // 000000006D08: BEBC0180
	v_readlane_b32 s82, v3, 6                                  // 000000006D0C: D2890052 00010D03
	s_and_b32 s82, s82, 0xffffff                               // 000000006D14: 8652FF52 00FFFFFF
	s_cmp_lt_u32 s82, s66                                      // 000000006D1C: BF0A4252
	s_cselect_b32 s20, s36, s60                                // 000000006D20: 85143C24
	v_readlane_b32 s82, v3, 7                                  // 000000006D24: D2890052 00010F03
	s_and_b32 s82, s82, 0xffffff                               // 000000006D2C: 8652FF52 00FFFFFF
	s_cmp_lt_u32 s82, s66                                      // 000000006D34: BF0A4252
	s_cselect_b32 s21, s36, s60                                // 000000006D38: 85153C24
	s_mov_b64 exec, s[20:21]                                   // 000000006D3C: BEFE0114
	global_atomic_add_f32 v6, v73, s[8:9]                      // 000000006D40: DD348000 00084906
	global_atomic_add_f32 v6, v77, s[8:9] offset:256           // 000000006D48: DD348100 00084D06
	global_atomic_add_f32 v6, v81, s[8:9] offset:512           // 000000006D50: DD348200 00085106
	global_atomic_add_f32 v6, v85, s[8:9] offset:768           // 000000006D58: DD348300 00085506
	s_mov_b64 exec, s[36:37]                                   // 000000006D60: BEFE0124
	v_mov_b32_e32 v6, v48                                      // 000000006D64: 7E0C0330
	s_mov_b64 s[60:61], 0                                      // 000000006D68: BEBC0180
	v_readlane_b32 s82, v3, 8                                  // 000000006D6C: D2890052 00011103
	s_and_b32 s82, s82, 0xffffff                               // 000000006D74: 8652FF52 00FFFFFF
	s_cmp_lt_u32 s82, s66                                      // 000000006D7C: BF0A4252
	s_cselect_b32 s20, s36, s60                                // 000000006D80: 85143C24
	v_readlane_b32 s82, v3, 9                                  // 000000006D84: D2890052 00011303
	s_and_b32 s82, s82, 0xffffff                               // 000000006D8C: 8652FF52 00FFFFFF
	s_cmp_lt_u32 s82, s66                                      // 000000006D94: BF0A4252
	s_cselect_b32 s21, s36, s60                                // 000000006D98: 85153C24
	s_mov_b64 exec, s[20:21]                                   // 000000006D9C: BEFE0114
	global_atomic_add_f32 v6, v88, s[8:9]                      // 000000006DA0: DD348000 00085806
	global_atomic_add_f32 v6, v92, s[8:9] offset:256           // 000000006DA8: DD348100 00085C06
	global_atomic_add_f32 v6, v96, s[8:9] offset:512           // 000000006DB0: DD348200 00086006
	global_atomic_add_f32 v6, v100, s[8:9] offset:768          // 000000006DB8: DD348300 00086406
	s_mov_b64 exec, s[36:37]                                   // 000000006DC0: BEFE0124
	v_mov_b32_e32 v6, v49                                      // 000000006DC4: 7E0C0331
	s_mov_b64 s[60:61], 0                                      // 000000006DC8: BEBC0180
	v_readlane_b32 s82, v3, 10                                 // 000000006DCC: D2890052 00011503
	s_and_b32 s82, s82, 0xffffff                               // 000000006DD4: 8652FF52 00FFFFFF
	s_cmp_lt_u32 s82, s66                                      // 000000006DDC: BF0A4252
	s_cselect_b32 s20, s36, s60                                // 000000006DE0: 85143C24
	v_readlane_b32 s82, v3, 11                                 // 000000006DE4: D2890052 00011703
	s_and_b32 s82, s82, 0xffffff                               // 000000006DEC: 8652FF52 00FFFFFF
	s_cmp_lt_u32 s82, s66                                      // 000000006DF4: BF0A4252
	s_cselect_b32 s21, s36, s60                                // 000000006DF8: 85153C24
	s_mov_b64 exec, s[20:21]                                   // 000000006DFC: BEFE0114
	global_atomic_add_f32 v6, v89, s[8:9]                      // 000000006E00: DD348000 00085906
	global_atomic_add_f32 v6, v93, s[8:9] offset:256           // 000000006E08: DD348100 00085D06
	global_atomic_add_f32 v6, v97, s[8:9] offset:512           // 000000006E10: DD348200 00086106
	global_atomic_add_f32 v6, v101, s[8:9] offset:768          // 000000006E18: DD348300 00086506
	s_mov_b64 exec, s[36:37]                                   // 000000006E20: BEFE0124
	v_mov_b32_e32 v6, v50                                      // 000000006E24: 7E0C0332
	s_mov_b64 s[60:61], 0                                      // 000000006E28: BEBC0180
	v_readlane_b32 s82, v3, 12                                 // 000000006E2C: D2890052 00011903
	s_and_b32 s82, s82, 0xffffff                               // 000000006E34: 8652FF52 00FFFFFF
	s_cmp_lt_u32 s82, s66                                      // 000000006E3C: BF0A4252
	s_cselect_b32 s20, s36, s60                                // 000000006E40: 85143C24
	v_readlane_b32 s82, v3, 13                                 // 000000006E44: D2890052 00011B03
	s_and_b32 s82, s82, 0xffffff                               // 000000006E4C: 8652FF52 00FFFFFF
	s_cmp_lt_u32 s82, s66                                      // 000000006E54: BF0A4252
	s_cselect_b32 s21, s36, s60                                // 000000006E58: 85153C24
	s_mov_b64 exec, s[20:21]                                   // 000000006E5C: BEFE0114
	global_atomic_add_f32 v6, v104, s[8:9]                     // 000000006E60: DD348000 00086806
	global_atomic_add_f32 v6, v108, s[8:9] offset:256          // 000000006E68: DD348100 00086C06
	global_atomic_add_f32 v6, v112, s[8:9] offset:512          // 000000006E70: DD348200 00087006
	global_atomic_add_f32 v6, v116, s[8:9] offset:768          // 000000006E78: DD348300 00087406
	s_mov_b64 exec, s[36:37]                                   // 000000006E80: BEFE0124
	v_mov_b32_e32 v6, v51                                      // 000000006E84: 7E0C0333
	s_mov_b64 s[60:61], 0                                      // 000000006E88: BEBC0180
	v_readlane_b32 s82, v3, 14                                 // 000000006E8C: D2890052 00011D03
	s_and_b32 s82, s82, 0xffffff                               // 000000006E94: 8652FF52 00FFFFFF
	s_cmp_lt_u32 s82, s66                                      // 000000006E9C: BF0A4252
	s_cselect_b32 s20, s36, s60                                // 000000006EA0: 85143C24
	v_readlane_b32 s82, v3, 15                                 // 000000006EA4: D2890052 00011F03
	s_and_b32 s82, s82, 0xffffff                               // 000000006EAC: 8652FF52 00FFFFFF
	s_cmp_lt_u32 s82, s66                                      // 000000006EB4: BF0A4252
	s_cselect_b32 s21, s36, s60                                // 000000006EB8: 85153C24
	s_mov_b64 exec, s[20:21]                                   // 000000006EBC: BEFE0114
	global_atomic_add_f32 v6, v105, s[8:9]                     // 000000006EC0: DD348000 00086906
	global_atomic_add_f32 v6, v109, s[8:9] offset:256          // 000000006EC8: DD348100 00086D06
	global_atomic_add_f32 v6, v113, s[8:9] offset:512          // 000000006ED0: DD348200 00087106
	global_atomic_add_f32 v6, v117, s[8:9] offset:768          // 000000006ED8: DD348300 00087506
	s_mov_b64 exec, s[36:37]                                   // 000000006EE0: BEFE0124
	ds_write_b64 v20, v[58:59]                                 // 000000006EE4: D89A0000 00003A14
	ds_write_b64 v20, v[62:63] offset:8704                     // 000000006EEC: D89A2200 00003E14
	ds_write_b64 v20, v[66:67] offset:17408                    // 000000006EF4: D89A4400 00004214
	ds_write_b64 v20, v[70:71] offset:26112                    // 000000006EFC: D89A6600 00004614
	ds_write_b64 v20, v[74:75] offset:2176                     // 000000006F04: D89A0880 00004A14
	ds_write_b64 v20, v[78:79] offset:10880                    // 000000006F0C: D89A2A80 00004E14
	ds_write_b64 v20, v[82:83] offset:19584                    // 000000006F14: D89A4C80 00005214
	ds_write_b64 v20, v[86:87] offset:28288                    // 000000006F1C: D89A6E80 00005614
	ds_write_b64 v20, v[90:91] offset:4352                     // 000000006F24: D89A1100 00005A14
	ds_write_b64 v20, v[94:95] offset:13056                    // 000000006F2C: D89A3300 00005E14
	ds_write_b64 v20, v[98:99] offset:21760                    // 000000006F34: D89A5500 00006214
	ds_write_b64 v20, v[102:103] offset:30464                  // 000000006F3C: D89A7700 00006614
	ds_write_b64 v20, v[106:107] offset:6528                   // 000000006F44: D89A1980 00006A14
	ds_write_b64 v20, v[110:111] offset:15232                  // 000000006F4C: D89A3B80 00006E14
	ds_write_b64 v20, v[114:115] offset:23936                  // 000000006F54: D89A5D80 00007214
	ds_write_b64 v20, v[118:119] offset:32640                  // 000000006F5C: D89A7F80 00007614
	s_waitcnt lgkmcnt(0)                                       // 000000006F64: BF8CC07F
	s_barrier                                                  // 000000006F68: BF8A0000
	ds_read_b32 v58, v21                                       // 000000006F6C: D86C0000 3A000015
	ds_read_b32 v59, v21 offset:64                             // 000000006F74: D86C0040 3B000015
	ds_read_b32 v62, v21 offset:2176                           // 000000006F7C: D86C0880 3E000015
	ds_read_b32 v63, v21 offset:2240                           // 000000006F84: D86C08C0 3F000015
	ds_read_b32 v66, v21 offset:4352                           // 000000006F8C: D86C1100 42000015
	ds_read_b32 v67, v21 offset:4416                           // 000000006F94: D86C1140 43000015
	ds_read_b32 v70, v21 offset:6528                           // 000000006F9C: D86C1980 46000015
	ds_read_b32 v71, v21 offset:6592                           // 000000006FA4: D86C19C0 47000015
	ds_read_b32 v74, v21 offset:8704                           // 000000006FAC: D86C2200 4A000015
	ds_read_b32 v75, v21 offset:8768                           // 000000006FB4: D86C2240 4B000015
	ds_read_b32 v78, v21 offset:10880                          // 000000006FBC: D86C2A80 4E000015
	ds_read_b32 v79, v21 offset:10944                          // 000000006FC4: D86C2AC0 4F000015
	ds_read_b32 v82, v21 offset:13056                          // 000000006FCC: D86C3300 52000015
	ds_read_b32 v83, v21 offset:13120                          // 000000006FD4: D86C3340 53000015
	ds_read_b32 v86, v21 offset:15232                          // 000000006FDC: D86C3B80 56000015
	ds_read_b32 v87, v21 offset:15296                          // 000000006FE4: D86C3BC0 57000015
	ds_read_b32 v90, v21 offset:17408                          // 000000006FEC: D86C4400 5A000015
	ds_read_b32 v91, v21 offset:17472                          // 000000006FF4: D86C4440 5B000015
	ds_read_b32 v94, v21 offset:19584                          // 000000006FFC: D86C4C80 5E000015
	ds_read_b32 v95, v21 offset:19648                          // 000000007004: D86C4CC0 5F000015
	ds_read_b32 v98, v21 offset:21760                          // 00000000700C: D86C5500 62000015
	ds_read_b32 v99, v21 offset:21824                          // 000000007014: D86C5540 63000015
	ds_read_b32 v102, v21 offset:23936                         // 00000000701C: D86C5D80 66000015
	ds_read_b32 v103, v21 offset:24000                         // 000000007024: D86C5DC0 67000015
	ds_read_b32 v106, v21 offset:26112                         // 00000000702C: D86C6600 6A000015
	ds_read_b32 v107, v21 offset:26176                         // 000000007034: D86C6640 6B000015
	ds_read_b32 v110, v21 offset:28288                         // 00000000703C: D86C6E80 6E000015
	ds_read_b32 v111, v21 offset:28352                         // 000000007044: D86C6EC0 6F000015
	ds_read_b32 v114, v21 offset:30464                         // 00000000704C: D86C7700 72000015
	ds_read_b32 v115, v21 offset:30528                         // 000000007054: D86C7740 73000015
	ds_read_b32 v118, v21 offset:32640                         // 00000000705C: D86C7F80 76000015
	ds_read_b32 v119, v21 offset:32704                         // 000000007064: D86C7FC0 77000015
	s_waitcnt lgkmcnt(0)                                       // 00000000706C: BF8CC07F
	v_mov_b32_e32 v7, 0                                        // 000000007070: 7E0E0280
	s_mov_b64 exec, s[36:37]                                   // 000000007074: BEFE0124
	v_mov_b32_e32 v6, v44                                      // 000000007078: 7E0C032C
	s_mov_b64 s[60:61], 0                                      // 00000000707C: BEBC0180
	v_readlane_b32 s82, v3, 0                                  // 000000007080: D2890052 00010103
	s_and_b32 s82, s82, 0xffffff                               // 000000007088: 8652FF52 00FFFFFF
	s_cmp_lt_u32 s82, s66                                      // 000000007090: BF0A4252
	s_cselect_b32 s20, s36, s60                                // 000000007094: 85143C24
	v_readlane_b32 s82, v3, 1                                  // 000000007098: D2890052 00010303
	s_and_b32 s82, s82, 0xffffff                               // 0000000070A0: 8652FF52 00FFFFFF
	s_cmp_lt_u32 s82, s66                                      // 0000000070A8: BF0A4252
	s_cselect_b32 s21, s36, s60                                // 0000000070AC: 85153C24
	s_mov_b64 exec, s[20:21]                                   // 0000000070B0: BEFE0114
	global_atomic_add_f32 v6, v58, s[8:9] offset:8             // 0000000070B4: DD348008 00083A06
	global_atomic_add_f32 v6, v62, s[8:9] offset:264           // 0000000070BC: DD348108 00083E06
	global_atomic_add_f32 v6, v66, s[8:9] offset:520           // 0000000070C4: DD348208 00084206
	global_atomic_add_f32 v6, v70, s[8:9] offset:776           // 0000000070CC: DD348308 00084606
	s_mov_b64 exec, s[36:37]                                   // 0000000070D4: BEFE0124
	v_mov_b32_e32 v6, v45                                      // 0000000070D8: 7E0C032D
	s_mov_b64 s[60:61], 0                                      // 0000000070DC: BEBC0180
	v_readlane_b32 s82, v3, 2                                  // 0000000070E0: D2890052 00010503
	s_and_b32 s82, s82, 0xffffff                               // 0000000070E8: 8652FF52 00FFFFFF
	s_cmp_lt_u32 s82, s66                                      // 0000000070F0: BF0A4252
	s_cselect_b32 s20, s36, s60                                // 0000000070F4: 85143C24
	v_readlane_b32 s82, v3, 3                                  // 0000000070F8: D2890052 00010703
	s_and_b32 s82, s82, 0xffffff                               // 000000007100: 8652FF52 00FFFFFF
	s_cmp_lt_u32 s82, s66                                      // 000000007108: BF0A4252
	s_cselect_b32 s21, s36, s60                                // 00000000710C: 85153C24
	s_mov_b64 exec, s[20:21]                                   // 000000007110: BEFE0114
	global_atomic_add_f32 v6, v59, s[8:9] offset:8             // 000000007114: DD348008 00083B06
	global_atomic_add_f32 v6, v63, s[8:9] offset:264           // 00000000711C: DD348108 00083F06
	global_atomic_add_f32 v6, v67, s[8:9] offset:520           // 000000007124: DD348208 00084306
	global_atomic_add_f32 v6, v71, s[8:9] offset:776           // 00000000712C: DD348308 00084706
	s_mov_b64 exec, s[36:37]                                   // 000000007134: BEFE0124
	v_mov_b32_e32 v6, v46                                      // 000000007138: 7E0C032E
	s_mov_b64 s[60:61], 0                                      // 00000000713C: BEBC0180
	v_readlane_b32 s82, v3, 4                                  // 000000007140: D2890052 00010903
	s_and_b32 s82, s82, 0xffffff                               // 000000007148: 8652FF52 00FFFFFF
	s_cmp_lt_u32 s82, s66                                      // 000000007150: BF0A4252
	s_cselect_b32 s20, s36, s60                                // 000000007154: 85143C24
	v_readlane_b32 s82, v3, 5                                  // 000000007158: D2890052 00010B03
	s_and_b32 s82, s82, 0xffffff                               // 000000007160: 8652FF52 00FFFFFF
	s_cmp_lt_u32 s82, s66                                      // 000000007168: BF0A4252
	s_cselect_b32 s21, s36, s60                                // 00000000716C: 85153C24
	s_mov_b64 exec, s[20:21]                                   // 000000007170: BEFE0114
	global_atomic_add_f32 v6, v74, s[8:9] offset:8             // 000000007174: DD348008 00084A06
	global_atomic_add_f32 v6, v78, s[8:9] offset:264           // 00000000717C: DD348108 00084E06
	global_atomic_add_f32 v6, v82, s[8:9] offset:520           // 000000007184: DD348208 00085206
	global_atomic_add_f32 v6, v86, s[8:9] offset:776           // 00000000718C: DD348308 00085606
	s_mov_b64 exec, s[36:37]                                   // 000000007194: BEFE0124
	v_mov_b32_e32 v6, v47                                      // 000000007198: 7E0C032F
	s_mov_b64 s[60:61], 0                                      // 00000000719C: BEBC0180
	v_readlane_b32 s82, v3, 6                                  // 0000000071A0: D2890052 00010D03
	s_and_b32 s82, s82, 0xffffff                               // 0000000071A8: 8652FF52 00FFFFFF
	s_cmp_lt_u32 s82, s66                                      // 0000000071B0: BF0A4252
	s_cselect_b32 s20, s36, s60                                // 0000000071B4: 85143C24
	v_readlane_b32 s82, v3, 7                                  // 0000000071B8: D2890052 00010F03
	s_and_b32 s82, s82, 0xffffff                               // 0000000071C0: 8652FF52 00FFFFFF
	s_cmp_lt_u32 s82, s66                                      // 0000000071C8: BF0A4252
	s_cselect_b32 s21, s36, s60                                // 0000000071CC: 85153C24
	s_mov_b64 exec, s[20:21]                                   // 0000000071D0: BEFE0114
	global_atomic_add_f32 v6, v75, s[8:9] offset:8             // 0000000071D4: DD348008 00084B06
	global_atomic_add_f32 v6, v79, s[8:9] offset:264           // 0000000071DC: DD348108 00084F06
	global_atomic_add_f32 v6, v83, s[8:9] offset:520           // 0000000071E4: DD348208 00085306
	global_atomic_add_f32 v6, v87, s[8:9] offset:776           // 0000000071EC: DD348308 00085706
	s_mov_b64 exec, s[36:37]                                   // 0000000071F4: BEFE0124
	v_mov_b32_e32 v6, v48                                      // 0000000071F8: 7E0C0330
	s_mov_b64 s[60:61], 0                                      // 0000000071FC: BEBC0180
	v_readlane_b32 s82, v3, 8                                  // 000000007200: D2890052 00011103
	s_and_b32 s82, s82, 0xffffff                               // 000000007208: 8652FF52 00FFFFFF
	s_cmp_lt_u32 s82, s66                                      // 000000007210: BF0A4252
	s_cselect_b32 s20, s36, s60                                // 000000007214: 85143C24
	v_readlane_b32 s82, v3, 9                                  // 000000007218: D2890052 00011303
	s_and_b32 s82, s82, 0xffffff                               // 000000007220: 8652FF52 00FFFFFF
	s_cmp_lt_u32 s82, s66                                      // 000000007228: BF0A4252
	s_cselect_b32 s21, s36, s60                                // 00000000722C: 85153C24
	s_mov_b64 exec, s[20:21]                                   // 000000007230: BEFE0114
	global_atomic_add_f32 v6, v90, s[8:9] offset:8             // 000000007234: DD348008 00085A06
	global_atomic_add_f32 v6, v94, s[8:9] offset:264           // 00000000723C: DD348108 00085E06
	global_atomic_add_f32 v6, v98, s[8:9] offset:520           // 000000007244: DD348208 00086206
	global_atomic_add_f32 v6, v102, s[8:9] offset:776          // 00000000724C: DD348308 00086606
	s_mov_b64 exec, s[36:37]                                   // 000000007254: BEFE0124
	v_mov_b32_e32 v6, v49                                      // 000000007258: 7E0C0331
	s_mov_b64 s[60:61], 0                                      // 00000000725C: BEBC0180
	v_readlane_b32 s82, v3, 10                                 // 000000007260: D2890052 00011503
	s_and_b32 s82, s82, 0xffffff                               // 000000007268: 8652FF52 00FFFFFF
	s_cmp_lt_u32 s82, s66                                      // 000000007270: BF0A4252
	s_cselect_b32 s20, s36, s60                                // 000000007274: 85143C24
	v_readlane_b32 s82, v3, 11                                 // 000000007278: D2890052 00011703
	s_and_b32 s82, s82, 0xffffff                               // 000000007280: 8652FF52 00FFFFFF
	s_cmp_lt_u32 s82, s66                                      // 000000007288: BF0A4252
	s_cselect_b32 s21, s36, s60                                // 00000000728C: 85153C24
	s_mov_b64 exec, s[20:21]                                   // 000000007290: BEFE0114
	global_atomic_add_f32 v6, v91, s[8:9] offset:8             // 000000007294: DD348008 00085B06
	global_atomic_add_f32 v6, v95, s[8:9] offset:264           // 00000000729C: DD348108 00085F06
	global_atomic_add_f32 v6, v99, s[8:9] offset:520           // 0000000072A4: DD348208 00086306
	global_atomic_add_f32 v6, v103, s[8:9] offset:776          // 0000000072AC: DD348308 00086706
	s_mov_b64 exec, s[36:37]                                   // 0000000072B4: BEFE0124
	v_mov_b32_e32 v6, v50                                      // 0000000072B8: 7E0C0332
	s_mov_b64 s[60:61], 0                                      // 0000000072BC: BEBC0180
	v_readlane_b32 s82, v3, 12                                 // 0000000072C0: D2890052 00011903
	s_and_b32 s82, s82, 0xffffff                               // 0000000072C8: 8652FF52 00FFFFFF
	s_cmp_lt_u32 s82, s66                                      // 0000000072D0: BF0A4252
	s_cselect_b32 s20, s36, s60                                // 0000000072D4: 85143C24
	v_readlane_b32 s82, v3, 13                                 // 0000000072D8: D2890052 00011B03
	s_and_b32 s82, s82, 0xffffff                               // 0000000072E0: 8652FF52 00FFFFFF
	s_cmp_lt_u32 s82, s66                                      // 0000000072E8: BF0A4252
	s_cselect_b32 s21, s36, s60                                // 0000000072EC: 85153C24
	s_mov_b64 exec, s[20:21]                                   // 0000000072F0: BEFE0114
	global_atomic_add_f32 v6, v106, s[8:9] offset:8            // 0000000072F4: DD348008 00086A06
	global_atomic_add_f32 v6, v110, s[8:9] offset:264          // 0000000072FC: DD348108 00086E06
	global_atomic_add_f32 v6, v114, s[8:9] offset:520          // 000000007304: DD348208 00087206
	global_atomic_add_f32 v6, v118, s[8:9] offset:776          // 00000000730C: DD348308 00087606
	s_mov_b64 exec, s[36:37]                                   // 000000007314: BEFE0124
	v_mov_b32_e32 v6, v51                                      // 000000007318: 7E0C0333
	s_mov_b64 s[60:61], 0                                      // 00000000731C: BEBC0180
	v_readlane_b32 s82, v3, 14                                 // 000000007320: D2890052 00011D03
	s_and_b32 s82, s82, 0xffffff                               // 000000007328: 8652FF52 00FFFFFF
	s_cmp_lt_u32 s82, s66                                      // 000000007330: BF0A4252
	s_cselect_b32 s20, s36, s60                                // 000000007334: 85143C24
	v_readlane_b32 s82, v3, 15                                 // 000000007338: D2890052 00011F03
	s_and_b32 s82, s82, 0xffffff                               // 000000007340: 8652FF52 00FFFFFF
	s_cmp_lt_u32 s82, s66                                      // 000000007348: BF0A4252
	s_cselect_b32 s21, s36, s60                                // 00000000734C: 85153C24
	s_mov_b64 exec, s[20:21]                                   // 000000007350: BEFE0114
	global_atomic_add_f32 v6, v107, s[8:9] offset:8            // 000000007354: DD348008 00086B06
	global_atomic_add_f32 v6, v111, s[8:9] offset:264          // 00000000735C: DD348108 00086F06
	global_atomic_add_f32 v6, v115, s[8:9] offset:520          // 000000007364: DD348208 00087306
	global_atomic_add_f32 v6, v119, s[8:9] offset:776          // 00000000736C: DD348308 00087706
	s_mov_b64 exec, s[36:37]                                   // 000000007374: BEFE0124
	ds_write_b64 v20, v[120:121]                               // 000000007378: D89A0000 00007814
	ds_write_b64 v20, v[124:125] offset:8704                   // 000000007380: D89A2200 00007C14
	ds_write_b64 v20, v[128:129] offset:17408                  // 000000007388: D89A4400 00008014
	ds_write_b64 v20, v[132:133] offset:26112                  // 000000007390: D89A6600 00008414
	ds_write_b64 v20, v[136:137] offset:2176                   // 000000007398: D89A0880 00008814
	ds_write_b64 v20, v[140:141] offset:10880                  // 0000000073A0: D89A2A80 00008C14
	ds_write_b64 v20, v[144:145] offset:19584                  // 0000000073A8: D89A4C80 00009014
	ds_write_b64 v20, v[148:149] offset:28288                  // 0000000073B0: D89A6E80 00009414
	ds_write_b64 v20, v[152:153] offset:4352                   // 0000000073B8: D89A1100 00009814
	ds_write_b64 v20, v[156:157] offset:13056                  // 0000000073C0: D89A3300 00009C14
	ds_write_b64 v20, v[160:161] offset:21760                  // 0000000073C8: D89A5500 0000A014
	ds_write_b64 v20, v[164:165] offset:30464                  // 0000000073D0: D89A7700 0000A414
	ds_write_b64 v20, v[168:169] offset:6528                   // 0000000073D8: D89A1980 0000A814
	ds_write_b64 v20, v[172:173] offset:15232                  // 0000000073E0: D89A3B80 0000AC14
	ds_write_b64 v20, v[176:177] offset:23936                  // 0000000073E8: D89A5D80 0000B014
	ds_write_b64 v20, v[180:181] offset:32640                  // 0000000073F0: D89A7F80 0000B414
	s_waitcnt lgkmcnt(0)                                       // 0000000073F8: BF8CC07F
	s_barrier                                                  // 0000000073FC: BF8A0000
	ds_read_b32 v120, v21                                      // 000000007400: D86C0000 78000015
	ds_read_b32 v121, v21 offset:64                            // 000000007408: D86C0040 79000015
	ds_read_b32 v124, v21 offset:2176                          // 000000007410: D86C0880 7C000015
	ds_read_b32 v125, v21 offset:2240                          // 000000007418: D86C08C0 7D000015
	ds_read_b32 v128, v21 offset:4352                          // 000000007420: D86C1100 80000015
	ds_read_b32 v129, v21 offset:4416                          // 000000007428: D86C1140 81000015
	ds_read_b32 v132, v21 offset:6528                          // 000000007430: D86C1980 84000015
	ds_read_b32 v133, v21 offset:6592                          // 000000007438: D86C19C0 85000015
	ds_read_b32 v136, v21 offset:8704                          // 000000007440: D86C2200 88000015
	ds_read_b32 v137, v21 offset:8768                          // 000000007448: D86C2240 89000015
	ds_read_b32 v140, v21 offset:10880                         // 000000007450: D86C2A80 8C000015
	ds_read_b32 v141, v21 offset:10944                         // 000000007458: D86C2AC0 8D000015
	ds_read_b32 v144, v21 offset:13056                         // 000000007460: D86C3300 90000015
	ds_read_b32 v145, v21 offset:13120                         // 000000007468: D86C3340 91000015
	ds_read_b32 v148, v21 offset:15232                         // 000000007470: D86C3B80 94000015
	ds_read_b32 v149, v21 offset:15296                         // 000000007478: D86C3BC0 95000015
	ds_read_b32 v152, v21 offset:17408                         // 000000007480: D86C4400 98000015
	ds_read_b32 v153, v21 offset:17472                         // 000000007488: D86C4440 99000015
	ds_read_b32 v156, v21 offset:19584                         // 000000007490: D86C4C80 9C000015
	ds_read_b32 v157, v21 offset:19648                         // 000000007498: D86C4CC0 9D000015
	ds_read_b32 v160, v21 offset:21760                         // 0000000074A0: D86C5500 A0000015
	ds_read_b32 v161, v21 offset:21824                         // 0000000074A8: D86C5540 A1000015
	ds_read_b32 v164, v21 offset:23936                         // 0000000074B0: D86C5D80 A4000015
	ds_read_b32 v165, v21 offset:24000                         // 0000000074B8: D86C5DC0 A5000015
	ds_read_b32 v168, v21 offset:26112                         // 0000000074C0: D86C6600 A8000015
	ds_read_b32 v169, v21 offset:26176                         // 0000000074C8: D86C6640 A9000015
	ds_read_b32 v172, v21 offset:28288                         // 0000000074D0: D86C6E80 AC000015
	ds_read_b32 v173, v21 offset:28352                         // 0000000074D8: D86C6EC0 AD000015
	ds_read_b32 v176, v21 offset:30464                         // 0000000074E0: D86C7700 B0000015
	ds_read_b32 v177, v21 offset:30528                         // 0000000074E8: D86C7740 B1000015
	ds_read_b32 v180, v21 offset:32640                         // 0000000074F0: D86C7F80 B4000015
	ds_read_b32 v181, v21 offset:32704                         // 0000000074F8: D86C7FC0 B5000015
	s_mul_i32 s60, s65, 4                                      // 000000007500: 923C8441
	s_add_u32 s8, s60, s8                                      // 000000007504: 8008083C
	s_addc_u32 s9, 0, s9                                       // 000000007508: 82090980
	s_waitcnt lgkmcnt(0)                                       // 00000000750C: BF8CC07F
	v_mov_b32_e32 v7, 0                                        // 000000007510: 7E0E0280
	s_mov_b64 exec, s[36:37]                                   // 000000007514: BEFE0124
	v_mov_b32_e32 v6, v44                                      // 000000007518: 7E0C032C
	s_mov_b64 s[60:61], 0                                      // 00000000751C: BEBC0180
	v_readlane_b32 s82, v3, 0                                  // 000000007520: D2890052 00010103
	s_and_b32 s82, s82, 0xffffff                               // 000000007528: 8652FF52 00FFFFFF
	s_cmp_lt_u32 s82, s66                                      // 000000007530: BF0A4252
	s_cselect_b32 s20, s36, s60                                // 000000007534: 85143C24
	v_readlane_b32 s82, v3, 1                                  // 000000007538: D2890052 00010303
	s_and_b32 s82, s82, 0xffffff                               // 000000007540: 8652FF52 00FFFFFF
	s_cmp_lt_u32 s82, s66                                      // 000000007548: BF0A4252
	s_cselect_b32 s21, s36, s60                                // 00000000754C: 85153C24
	s_mov_b64 exec, s[20:21]                                   // 000000007550: BEFE0114
	global_atomic_add_f32 v6, v120, s[8:9]                     // 000000007554: DD348000 00087806
	global_atomic_add_f32 v6, v124, s[8:9] offset:256          // 00000000755C: DD348100 00087C06
	global_atomic_add_f32 v6, v128, s[8:9] offset:512          // 000000007564: DD348200 00088006
	global_atomic_add_f32 v6, v132, s[8:9] offset:768          // 00000000756C: DD348300 00088406
	s_mov_b64 exec, s[36:37]                                   // 000000007574: BEFE0124
	v_mov_b32_e32 v6, v45                                      // 000000007578: 7E0C032D
	s_mov_b64 s[60:61], 0                                      // 00000000757C: BEBC0180
	v_readlane_b32 s82, v3, 2                                  // 000000007580: D2890052 00010503
	s_and_b32 s82, s82, 0xffffff                               // 000000007588: 8652FF52 00FFFFFF
	s_cmp_lt_u32 s82, s66                                      // 000000007590: BF0A4252
	s_cselect_b32 s20, s36, s60                                // 000000007594: 85143C24
	v_readlane_b32 s82, v3, 3                                  // 000000007598: D2890052 00010703
	s_and_b32 s82, s82, 0xffffff                               // 0000000075A0: 8652FF52 00FFFFFF
	s_cmp_lt_u32 s82, s66                                      // 0000000075A8: BF0A4252
	s_cselect_b32 s21, s36, s60                                // 0000000075AC: 85153C24
	s_mov_b64 exec, s[20:21]                                   // 0000000075B0: BEFE0114
	global_atomic_add_f32 v6, v121, s[8:9]                     // 0000000075B4: DD348000 00087906
	global_atomic_add_f32 v6, v125, s[8:9] offset:256          // 0000000075BC: DD348100 00087D06
	global_atomic_add_f32 v6, v129, s[8:9] offset:512          // 0000000075C4: DD348200 00088106
	global_atomic_add_f32 v6, v133, s[8:9] offset:768          // 0000000075CC: DD348300 00088506
	s_mov_b64 exec, s[36:37]                                   // 0000000075D4: BEFE0124
	v_mov_b32_e32 v6, v46                                      // 0000000075D8: 7E0C032E
	s_mov_b64 s[60:61], 0                                      // 0000000075DC: BEBC0180
	v_readlane_b32 s82, v3, 4                                  // 0000000075E0: D2890052 00010903
	s_and_b32 s82, s82, 0xffffff                               // 0000000075E8: 8652FF52 00FFFFFF
	s_cmp_lt_u32 s82, s66                                      // 0000000075F0: BF0A4252
	s_cselect_b32 s20, s36, s60                                // 0000000075F4: 85143C24
	v_readlane_b32 s82, v3, 5                                  // 0000000075F8: D2890052 00010B03
	s_and_b32 s82, s82, 0xffffff                               // 000000007600: 8652FF52 00FFFFFF
	s_cmp_lt_u32 s82, s66                                      // 000000007608: BF0A4252
	s_cselect_b32 s21, s36, s60                                // 00000000760C: 85153C24
	s_mov_b64 exec, s[20:21]                                   // 000000007610: BEFE0114
	global_atomic_add_f32 v6, v136, s[8:9]                     // 000000007614: DD348000 00088806
	global_atomic_add_f32 v6, v140, s[8:9] offset:256          // 00000000761C: DD348100 00088C06
	global_atomic_add_f32 v6, v144, s[8:9] offset:512          // 000000007624: DD348200 00089006
	global_atomic_add_f32 v6, v148, s[8:9] offset:768          // 00000000762C: DD348300 00089406
	s_mov_b64 exec, s[36:37]                                   // 000000007634: BEFE0124
	v_mov_b32_e32 v6, v47                                      // 000000007638: 7E0C032F
	s_mov_b64 s[60:61], 0                                      // 00000000763C: BEBC0180
	v_readlane_b32 s82, v3, 6                                  // 000000007640: D2890052 00010D03
	s_and_b32 s82, s82, 0xffffff                               // 000000007648: 8652FF52 00FFFFFF
	s_cmp_lt_u32 s82, s66                                      // 000000007650: BF0A4252
	s_cselect_b32 s20, s36, s60                                // 000000007654: 85143C24
	v_readlane_b32 s82, v3, 7                                  // 000000007658: D2890052 00010F03
	s_and_b32 s82, s82, 0xffffff                               // 000000007660: 8652FF52 00FFFFFF
	s_cmp_lt_u32 s82, s66                                      // 000000007668: BF0A4252
	s_cselect_b32 s21, s36, s60                                // 00000000766C: 85153C24
	s_mov_b64 exec, s[20:21]                                   // 000000007670: BEFE0114
	global_atomic_add_f32 v6, v137, s[8:9]                     // 000000007674: DD348000 00088906
	global_atomic_add_f32 v6, v141, s[8:9] offset:256          // 00000000767C: DD348100 00088D06
	global_atomic_add_f32 v6, v145, s[8:9] offset:512          // 000000007684: DD348200 00089106
	global_atomic_add_f32 v6, v149, s[8:9] offset:768          // 00000000768C: DD348300 00089506
	s_mov_b64 exec, s[36:37]                                   // 000000007694: BEFE0124
	v_mov_b32_e32 v6, v48                                      // 000000007698: 7E0C0330
	s_mov_b64 s[60:61], 0                                      // 00000000769C: BEBC0180
	v_readlane_b32 s82, v3, 8                                  // 0000000076A0: D2890052 00011103
	s_and_b32 s82, s82, 0xffffff                               // 0000000076A8: 8652FF52 00FFFFFF
	s_cmp_lt_u32 s82, s66                                      // 0000000076B0: BF0A4252
	s_cselect_b32 s20, s36, s60                                // 0000000076B4: 85143C24
	v_readlane_b32 s82, v3, 9                                  // 0000000076B8: D2890052 00011303
	s_and_b32 s82, s82, 0xffffff                               // 0000000076C0: 8652FF52 00FFFFFF
	s_cmp_lt_u32 s82, s66                                      // 0000000076C8: BF0A4252
	s_cselect_b32 s21, s36, s60                                // 0000000076CC: 85153C24
	s_mov_b64 exec, s[20:21]                                   // 0000000076D0: BEFE0114
	global_atomic_add_f32 v6, v152, s[8:9]                     // 0000000076D4: DD348000 00089806
	global_atomic_add_f32 v6, v156, s[8:9] offset:256          // 0000000076DC: DD348100 00089C06
	global_atomic_add_f32 v6, v160, s[8:9] offset:512          // 0000000076E4: DD348200 0008A006
	global_atomic_add_f32 v6, v164, s[8:9] offset:768          // 0000000076EC: DD348300 0008A406
	s_mov_b64 exec, s[36:37]                                   // 0000000076F4: BEFE0124
	v_mov_b32_e32 v6, v49                                      // 0000000076F8: 7E0C0331
	s_mov_b64 s[60:61], 0                                      // 0000000076FC: BEBC0180
	v_readlane_b32 s82, v3, 10                                 // 000000007700: D2890052 00011503
	s_and_b32 s82, s82, 0xffffff                               // 000000007708: 8652FF52 00FFFFFF
	s_cmp_lt_u32 s82, s66                                      // 000000007710: BF0A4252
	s_cselect_b32 s20, s36, s60                                // 000000007714: 85143C24
	v_readlane_b32 s82, v3, 11                                 // 000000007718: D2890052 00011703
	s_and_b32 s82, s82, 0xffffff                               // 000000007720: 8652FF52 00FFFFFF
	s_cmp_lt_u32 s82, s66                                      // 000000007728: BF0A4252
	s_cselect_b32 s21, s36, s60                                // 00000000772C: 85153C24
	s_mov_b64 exec, s[20:21]                                   // 000000007730: BEFE0114
	global_atomic_add_f32 v6, v153, s[8:9]                     // 000000007734: DD348000 00089906
	global_atomic_add_f32 v6, v157, s[8:9] offset:256          // 00000000773C: DD348100 00089D06
	global_atomic_add_f32 v6, v161, s[8:9] offset:512          // 000000007744: DD348200 0008A106
	global_atomic_add_f32 v6, v165, s[8:9] offset:768          // 00000000774C: DD348300 0008A506
	s_mov_b64 exec, s[36:37]                                   // 000000007754: BEFE0124
	v_mov_b32_e32 v6, v50                                      // 000000007758: 7E0C0332
	s_mov_b64 s[60:61], 0                                      // 00000000775C: BEBC0180
	v_readlane_b32 s82, v3, 12                                 // 000000007760: D2890052 00011903
	s_and_b32 s82, s82, 0xffffff                               // 000000007768: 8652FF52 00FFFFFF
	s_cmp_lt_u32 s82, s66                                      // 000000007770: BF0A4252
	s_cselect_b32 s20, s36, s60                                // 000000007774: 85143C24
	v_readlane_b32 s82, v3, 13                                 // 000000007778: D2890052 00011B03
	s_and_b32 s82, s82, 0xffffff                               // 000000007780: 8652FF52 00FFFFFF
	s_cmp_lt_u32 s82, s66                                      // 000000007788: BF0A4252
	s_cselect_b32 s21, s36, s60                                // 00000000778C: 85153C24
	s_mov_b64 exec, s[20:21]                                   // 000000007790: BEFE0114
	global_atomic_add_f32 v6, v168, s[8:9]                     // 000000007794: DD348000 0008A806
	global_atomic_add_f32 v6, v172, s[8:9] offset:256          // 00000000779C: DD348100 0008AC06
	global_atomic_add_f32 v6, v176, s[8:9] offset:512          // 0000000077A4: DD348200 0008B006
	global_atomic_add_f32 v6, v180, s[8:9] offset:768          // 0000000077AC: DD348300 0008B406
	s_mov_b64 exec, s[36:37]                                   // 0000000077B4: BEFE0124
	v_mov_b32_e32 v6, v51                                      // 0000000077B8: 7E0C0333
	s_mov_b64 s[60:61], 0                                      // 0000000077BC: BEBC0180
	v_readlane_b32 s82, v3, 14                                 // 0000000077C0: D2890052 00011D03
	s_and_b32 s82, s82, 0xffffff                               // 0000000077C8: 8652FF52 00FFFFFF
	s_cmp_lt_u32 s82, s66                                      // 0000000077D0: BF0A4252
	s_cselect_b32 s20, s36, s60                                // 0000000077D4: 85143C24
	v_readlane_b32 s82, v3, 15                                 // 0000000077D8: D2890052 00011F03
	s_and_b32 s82, s82, 0xffffff                               // 0000000077E0: 8652FF52 00FFFFFF
	s_cmp_lt_u32 s82, s66                                      // 0000000077E8: BF0A4252
	s_cselect_b32 s21, s36, s60                                // 0000000077EC: 85153C24
	s_mov_b64 exec, s[20:21]                                   // 0000000077F0: BEFE0114
	global_atomic_add_f32 v6, v169, s[8:9]                     // 0000000077F4: DD348000 0008A906
	global_atomic_add_f32 v6, v173, s[8:9] offset:256          // 0000000077FC: DD348100 0008AD06
	global_atomic_add_f32 v6, v177, s[8:9] offset:512          // 000000007804: DD348200 0008B106
	global_atomic_add_f32 v6, v181, s[8:9] offset:768          // 00000000780C: DD348300 0008B506
	s_mov_b64 exec, s[36:37]                                   // 000000007814: BEFE0124
	ds_write_b64 v20, v[122:123]                               // 000000007818: D89A0000 00007A14
	ds_write_b64 v20, v[126:127] offset:8704                   // 000000007820: D89A2200 00007E14
	ds_write_b64 v20, v[130:131] offset:17408                  // 000000007828: D89A4400 00008214
	ds_write_b64 v20, v[134:135] offset:26112                  // 000000007830: D89A6600 00008614
	ds_write_b64 v20, v[138:139] offset:2176                   // 000000007838: D89A0880 00008A14
	ds_write_b64 v20, v[142:143] offset:10880                  // 000000007840: D89A2A80 00008E14
	ds_write_b64 v20, v[146:147] offset:19584                  // 000000007848: D89A4C80 00009214
	ds_write_b64 v20, v[150:151] offset:28288                  // 000000007850: D89A6E80 00009614
	ds_write_b64 v20, v[154:155] offset:4352                   // 000000007858: D89A1100 00009A14
	ds_write_b64 v20, v[158:159] offset:13056                  // 000000007860: D89A3300 00009E14
	ds_write_b64 v20, v[162:163] offset:21760                  // 000000007868: D89A5500 0000A214
	ds_write_b64 v20, v[166:167] offset:30464                  // 000000007870: D89A7700 0000A614
	ds_write_b64 v20, v[170:171] offset:6528                   // 000000007878: D89A1980 0000AA14
	ds_write_b64 v20, v[174:175] offset:15232                  // 000000007880: D89A3B80 0000AE14
	ds_write_b64 v20, v[178:179] offset:23936                  // 000000007888: D89A5D80 0000B214
	ds_write_b64 v20, v[182:183] offset:32640                  // 000000007890: D89A7F80 0000B614
	s_waitcnt lgkmcnt(0)                                       // 000000007898: BF8CC07F
	s_barrier                                                  // 00000000789C: BF8A0000
	ds_read_b32 v122, v21                                      // 0000000078A0: D86C0000 7A000015
	ds_read_b32 v123, v21 offset:64                            // 0000000078A8: D86C0040 7B000015
	ds_read_b32 v126, v21 offset:2176                          // 0000000078B0: D86C0880 7E000015
	ds_read_b32 v127, v21 offset:2240                          // 0000000078B8: D86C08C0 7F000015
	ds_read_b32 v130, v21 offset:4352                          // 0000000078C0: D86C1100 82000015
	ds_read_b32 v131, v21 offset:4416                          // 0000000078C8: D86C1140 83000015
	ds_read_b32 v134, v21 offset:6528                          // 0000000078D0: D86C1980 86000015
	ds_read_b32 v135, v21 offset:6592                          // 0000000078D8: D86C19C0 87000015
	ds_read_b32 v138, v21 offset:8704                          // 0000000078E0: D86C2200 8A000015
	ds_read_b32 v139, v21 offset:8768                          // 0000000078E8: D86C2240 8B000015
	ds_read_b32 v142, v21 offset:10880                         // 0000000078F0: D86C2A80 8E000015
	ds_read_b32 v143, v21 offset:10944                         // 0000000078F8: D86C2AC0 8F000015
	ds_read_b32 v146, v21 offset:13056                         // 000000007900: D86C3300 92000015
	ds_read_b32 v147, v21 offset:13120                         // 000000007908: D86C3340 93000015
	ds_read_b32 v150, v21 offset:15232                         // 000000007910: D86C3B80 96000015
	ds_read_b32 v151, v21 offset:15296                         // 000000007918: D86C3BC0 97000015
	ds_read_b32 v154, v21 offset:17408                         // 000000007920: D86C4400 9A000015
	ds_read_b32 v155, v21 offset:17472                         // 000000007928: D86C4440 9B000015
	ds_read_b32 v158, v21 offset:19584                         // 000000007930: D86C4C80 9E000015
	ds_read_b32 v159, v21 offset:19648                         // 000000007938: D86C4CC0 9F000015
	ds_read_b32 v162, v21 offset:21760                         // 000000007940: D86C5500 A2000015
	ds_read_b32 v163, v21 offset:21824                         // 000000007948: D86C5540 A3000015
	ds_read_b32 v166, v21 offset:23936                         // 000000007950: D86C5D80 A6000015
	ds_read_b32 v167, v21 offset:24000                         // 000000007958: D86C5DC0 A7000015
	ds_read_b32 v170, v21 offset:26112                         // 000000007960: D86C6600 AA000015
	ds_read_b32 v171, v21 offset:26176                         // 000000007968: D86C6640 AB000015
	ds_read_b32 v174, v21 offset:28288                         // 000000007970: D86C6E80 AE000015
	ds_read_b32 v175, v21 offset:28352                         // 000000007978: D86C6EC0 AF000015
	ds_read_b32 v178, v21 offset:30464                         // 000000007980: D86C7700 B2000015
	ds_read_b32 v179, v21 offset:30528                         // 000000007988: D86C7740 B3000015
	ds_read_b32 v182, v21 offset:32640                         // 000000007990: D86C7F80 B6000015
	ds_read_b32 v183, v21 offset:32704                         // 000000007998: D86C7FC0 B7000015
	s_waitcnt lgkmcnt(0)                                       // 0000000079A0: BF8CC07F
	v_mov_b32_e32 v7, 0                                        // 0000000079A4: 7E0E0280
	s_mov_b64 exec, s[36:37]                                   // 0000000079A8: BEFE0124
	v_mov_b32_e32 v6, v44                                      // 0000000079AC: 7E0C032C
	s_mov_b64 s[60:61], 0                                      // 0000000079B0: BEBC0180
	v_readlane_b32 s82, v3, 0                                  // 0000000079B4: D2890052 00010103
	s_and_b32 s82, s82, 0xffffff                               // 0000000079BC: 8652FF52 00FFFFFF
	s_cmp_lt_u32 s82, s66                                      // 0000000079C4: BF0A4252
	s_cselect_b32 s20, s36, s60                                // 0000000079C8: 85143C24
	v_readlane_b32 s82, v3, 1                                  // 0000000079CC: D2890052 00010303
	s_and_b32 s82, s82, 0xffffff                               // 0000000079D4: 8652FF52 00FFFFFF
	s_cmp_lt_u32 s82, s66                                      // 0000000079DC: BF0A4252
	s_cselect_b32 s21, s36, s60                                // 0000000079E0: 85153C24
	s_mov_b64 exec, s[20:21]                                   // 0000000079E4: BEFE0114
	global_atomic_add_f32 v6, v122, s[8:9] offset:8            // 0000000079E8: DD348008 00087A06
	global_atomic_add_f32 v6, v126, s[8:9] offset:264          // 0000000079F0: DD348108 00087E06
	global_atomic_add_f32 v6, v130, s[8:9] offset:520          // 0000000079F8: DD348208 00088206
	global_atomic_add_f32 v6, v134, s[8:9] offset:776          // 000000007A00: DD348308 00088606
	s_mov_b64 exec, s[36:37]                                   // 000000007A08: BEFE0124
	v_mov_b32_e32 v6, v45                                      // 000000007A0C: 7E0C032D
	s_mov_b64 s[60:61], 0                                      // 000000007A10: BEBC0180
	v_readlane_b32 s82, v3, 2                                  // 000000007A14: D2890052 00010503
	s_and_b32 s82, s82, 0xffffff                               // 000000007A1C: 8652FF52 00FFFFFF
	s_cmp_lt_u32 s82, s66                                      // 000000007A24: BF0A4252
	s_cselect_b32 s20, s36, s60                                // 000000007A28: 85143C24
	v_readlane_b32 s82, v3, 3                                  // 000000007A2C: D2890052 00010703
	s_and_b32 s82, s82, 0xffffff                               // 000000007A34: 8652FF52 00FFFFFF
	s_cmp_lt_u32 s82, s66                                      // 000000007A3C: BF0A4252
	s_cselect_b32 s21, s36, s60                                // 000000007A40: 85153C24
	s_mov_b64 exec, s[20:21]                                   // 000000007A44: BEFE0114
	global_atomic_add_f32 v6, v123, s[8:9] offset:8            // 000000007A48: DD348008 00087B06
	global_atomic_add_f32 v6, v127, s[8:9] offset:264          // 000000007A50: DD348108 00087F06
	global_atomic_add_f32 v6, v131, s[8:9] offset:520          // 000000007A58: DD348208 00088306
	global_atomic_add_f32 v6, v135, s[8:9] offset:776          // 000000007A60: DD348308 00088706
	s_mov_b64 exec, s[36:37]                                   // 000000007A68: BEFE0124
	v_mov_b32_e32 v6, v46                                      // 000000007A6C: 7E0C032E
	s_mov_b64 s[60:61], 0                                      // 000000007A70: BEBC0180
	v_readlane_b32 s82, v3, 4                                  // 000000007A74: D2890052 00010903
	s_and_b32 s82, s82, 0xffffff                               // 000000007A7C: 8652FF52 00FFFFFF
	s_cmp_lt_u32 s82, s66                                      // 000000007A84: BF0A4252
	s_cselect_b32 s20, s36, s60                                // 000000007A88: 85143C24
	v_readlane_b32 s82, v3, 5                                  // 000000007A8C: D2890052 00010B03
	s_and_b32 s82, s82, 0xffffff                               // 000000007A94: 8652FF52 00FFFFFF
	s_cmp_lt_u32 s82, s66                                      // 000000007A9C: BF0A4252
	s_cselect_b32 s21, s36, s60                                // 000000007AA0: 85153C24
	s_mov_b64 exec, s[20:21]                                   // 000000007AA4: BEFE0114
	global_atomic_add_f32 v6, v138, s[8:9] offset:8            // 000000007AA8: DD348008 00088A06
	global_atomic_add_f32 v6, v142, s[8:9] offset:264          // 000000007AB0: DD348108 00088E06
	global_atomic_add_f32 v6, v146, s[8:9] offset:520          // 000000007AB8: DD348208 00089206
	global_atomic_add_f32 v6, v150, s[8:9] offset:776          // 000000007AC0: DD348308 00089606
	s_mov_b64 exec, s[36:37]                                   // 000000007AC8: BEFE0124
	v_mov_b32_e32 v6, v47                                      // 000000007ACC: 7E0C032F
	s_mov_b64 s[60:61], 0                                      // 000000007AD0: BEBC0180
	v_readlane_b32 s82, v3, 6                                  // 000000007AD4: D2890052 00010D03
	s_and_b32 s82, s82, 0xffffff                               // 000000007ADC: 8652FF52 00FFFFFF
	s_cmp_lt_u32 s82, s66                                      // 000000007AE4: BF0A4252
	s_cselect_b32 s20, s36, s60                                // 000000007AE8: 85143C24
	v_readlane_b32 s82, v3, 7                                  // 000000007AEC: D2890052 00010F03
	s_and_b32 s82, s82, 0xffffff                               // 000000007AF4: 8652FF52 00FFFFFF
	s_cmp_lt_u32 s82, s66                                      // 000000007AFC: BF0A4252
	s_cselect_b32 s21, s36, s60                                // 000000007B00: 85153C24
	s_mov_b64 exec, s[20:21]                                   // 000000007B04: BEFE0114
	global_atomic_add_f32 v6, v139, s[8:9] offset:8            // 000000007B08: DD348008 00088B06
	global_atomic_add_f32 v6, v143, s[8:9] offset:264          // 000000007B10: DD348108 00088F06
	global_atomic_add_f32 v6, v147, s[8:9] offset:520          // 000000007B18: DD348208 00089306
	global_atomic_add_f32 v6, v151, s[8:9] offset:776          // 000000007B20: DD348308 00089706
	s_mov_b64 exec, s[36:37]                                   // 000000007B28: BEFE0124
	v_mov_b32_e32 v6, v48                                      // 000000007B2C: 7E0C0330
	s_mov_b64 s[60:61], 0                                      // 000000007B30: BEBC0180
	v_readlane_b32 s82, v3, 8                                  // 000000007B34: D2890052 00011103
	s_and_b32 s82, s82, 0xffffff                               // 000000007B3C: 8652FF52 00FFFFFF
	s_cmp_lt_u32 s82, s66                                      // 000000007B44: BF0A4252
	s_cselect_b32 s20, s36, s60                                // 000000007B48: 85143C24
	v_readlane_b32 s82, v3, 9                                  // 000000007B4C: D2890052 00011303
	s_and_b32 s82, s82, 0xffffff                               // 000000007B54: 8652FF52 00FFFFFF
	s_cmp_lt_u32 s82, s66                                      // 000000007B5C: BF0A4252
	s_cselect_b32 s21, s36, s60                                // 000000007B60: 85153C24
	s_mov_b64 exec, s[20:21]                                   // 000000007B64: BEFE0114
	global_atomic_add_f32 v6, v154, s[8:9] offset:8            // 000000007B68: DD348008 00089A06
	global_atomic_add_f32 v6, v158, s[8:9] offset:264          // 000000007B70: DD348108 00089E06
	global_atomic_add_f32 v6, v162, s[8:9] offset:520          // 000000007B78: DD348208 0008A206
	global_atomic_add_f32 v6, v166, s[8:9] offset:776          // 000000007B80: DD348308 0008A606
	s_mov_b64 exec, s[36:37]                                   // 000000007B88: BEFE0124
	v_mov_b32_e32 v6, v49                                      // 000000007B8C: 7E0C0331
	s_mov_b64 s[60:61], 0                                      // 000000007B90: BEBC0180
	v_readlane_b32 s82, v3, 10                                 // 000000007B94: D2890052 00011503
	s_and_b32 s82, s82, 0xffffff                               // 000000007B9C: 8652FF52 00FFFFFF
	s_cmp_lt_u32 s82, s66                                      // 000000007BA4: BF0A4252
	s_cselect_b32 s20, s36, s60                                // 000000007BA8: 85143C24
	v_readlane_b32 s82, v3, 11                                 // 000000007BAC: D2890052 00011703
	s_and_b32 s82, s82, 0xffffff                               // 000000007BB4: 8652FF52 00FFFFFF
	s_cmp_lt_u32 s82, s66                                      // 000000007BBC: BF0A4252
	s_cselect_b32 s21, s36, s60                                // 000000007BC0: 85153C24
	s_mov_b64 exec, s[20:21]                                   // 000000007BC4: BEFE0114
	global_atomic_add_f32 v6, v155, s[8:9] offset:8            // 000000007BC8: DD348008 00089B06
	global_atomic_add_f32 v6, v159, s[8:9] offset:264          // 000000007BD0: DD348108 00089F06
	global_atomic_add_f32 v6, v163, s[8:9] offset:520          // 000000007BD8: DD348208 0008A306
	global_atomic_add_f32 v6, v167, s[8:9] offset:776          // 000000007BE0: DD348308 0008A706
	s_mov_b64 exec, s[36:37]                                   // 000000007BE8: BEFE0124
	v_mov_b32_e32 v6, v50                                      // 000000007BEC: 7E0C0332
	s_mov_b64 s[60:61], 0                                      // 000000007BF0: BEBC0180
	v_readlane_b32 s82, v3, 12                                 // 000000007BF4: D2890052 00011903
	s_and_b32 s82, s82, 0xffffff                               // 000000007BFC: 8652FF52 00FFFFFF
	s_cmp_lt_u32 s82, s66                                      // 000000007C04: BF0A4252
	s_cselect_b32 s20, s36, s60                                // 000000007C08: 85143C24
	v_readlane_b32 s82, v3, 13                                 // 000000007C0C: D2890052 00011B03
	s_and_b32 s82, s82, 0xffffff                               // 000000007C14: 8652FF52 00FFFFFF
	s_cmp_lt_u32 s82, s66                                      // 000000007C1C: BF0A4252
	s_cselect_b32 s21, s36, s60                                // 000000007C20: 85153C24
	s_mov_b64 exec, s[20:21]                                   // 000000007C24: BEFE0114
	global_atomic_add_f32 v6, v170, s[8:9] offset:8            // 000000007C28: DD348008 0008AA06
	global_atomic_add_f32 v6, v174, s[8:9] offset:264          // 000000007C30: DD348108 0008AE06
	global_atomic_add_f32 v6, v178, s[8:9] offset:520          // 000000007C38: DD348208 0008B206
	global_atomic_add_f32 v6, v182, s[8:9] offset:776          // 000000007C40: DD348308 0008B606
	s_mov_b64 exec, s[36:37]                                   // 000000007C48: BEFE0124
	v_mov_b32_e32 v6, v51                                      // 000000007C4C: 7E0C0333
	s_mov_b64 s[60:61], 0                                      // 000000007C50: BEBC0180
	v_readlane_b32 s82, v3, 14                                 // 000000007C54: D2890052 00011D03
	s_and_b32 s82, s82, 0xffffff                               // 000000007C5C: 8652FF52 00FFFFFF
	s_cmp_lt_u32 s82, s66                                      // 000000007C64: BF0A4252
	s_cselect_b32 s20, s36, s60                                // 000000007C68: 85143C24
	v_readlane_b32 s82, v3, 15                                 // 000000007C6C: D2890052 00011F03
	s_and_b32 s82, s82, 0xffffff                               // 000000007C74: 8652FF52 00FFFFFF
	s_cmp_lt_u32 s82, s66                                      // 000000007C7C: BF0A4252
	s_cselect_b32 s21, s36, s60                                // 000000007C80: 85153C24
	s_mov_b64 exec, s[20:21]                                   // 000000007C84: BEFE0114
	global_atomic_add_f32 v6, v171, s[8:9] offset:8            // 000000007C88: DD348008 0008AB06
	global_atomic_add_f32 v6, v175, s[8:9] offset:264          // 000000007C90: DD348108 0008AF06
	global_atomic_add_f32 v6, v179, s[8:9] offset:520          // 000000007C98: DD348208 0008B306
	global_atomic_add_f32 v6, v183, s[8:9] offset:776          // 000000007CA0: DD348308 0008B706
	s_mov_b64 exec, s[36:37]                                   // 000000007CA8: BEFE0124
	s_branch label_269D                                        // 000000007CAC: BF8211EE

0000000000007cb0 <label_14AF>:
	s_waitcnt vmcnt(6) lgkmcnt(0)                              // 000000007CB0: BF8C0076
	s_barrier                                                  // 000000007CB4: BF8A0000
	v_mfma_f32_16x16x32_fp8_fp8 v[56:59], a[64:65], a[0:1], v[56:59]// 000000007CB8: D3F30038 1CE20140
	buffer_load_dwordx4 a[96:99], v52, s[84:87], 0 offen       // 000000007CC0: E05C1000 80956034
	v_mfma_f32_16x16x32_fp8_fp8 v[56:59], a[66:67], a[2:3], v[56:59]// 000000007CC8: D3F30038 1CE20542
	v_mfma_f32_16x16x32_fp8_fp8 v[56:59], a[68:69], a[4:5], v[56:59]// 000000007CD0: D3F30038 1CE20944
	v_mfma_f32_16x16x32_fp8_fp8 v[56:59], a[70:71], a[6:7], v[56:59]// 000000007CD8: D3F30038 1CE20D46
	v_mfma_f32_16x16x32_fp8_fp8 v[60:63], a[64:65], a[8:9], v[60:63]// 000000007CE0: D3F3003C 1CF21140
	buffer_load_dwordx4 a[100:103], v52, s[84:87], 0 offen offset:1024// 000000007CE8: E05C1400 80956434
	v_mfma_f32_16x16x32_fp8_fp8 v[60:63], a[66:67], a[10:11], v[60:63]// 000000007CF0: D3F3003C 1CF21542
	v_mfma_f32_16x16x32_fp8_fp8 v[60:63], a[68:69], a[12:13], v[60:63]// 000000007CF8: D3F3003C 1CF21944
	v_mfma_f32_16x16x32_fp8_fp8 v[60:63], a[70:71], a[14:15], v[60:63]// 000000007D00: D3F3003C 1CF21D46
	v_mfma_f32_16x16x32_fp8_fp8 v[64:67], a[64:65], a[16:17], v[64:67]// 000000007D08: D3F30040 1D022140
	buffer_load_dwordx4 a[104:107], v53, s[84:87], 0 offen     // 000000007D10: E05C1000 80956835
	v_mfma_f32_16x16x32_fp8_fp8 v[64:67], a[66:67], a[18:19], v[64:67]// 000000007D18: D3F30040 1D022542
	v_mfma_f32_16x16x32_fp8_fp8 v[64:67], a[68:69], a[20:21], v[64:67]// 000000007D20: D3F30040 1D022944
	v_mfma_f32_16x16x32_fp8_fp8 v[64:67], a[70:71], a[22:23], v[64:67]// 000000007D28: D3F30040 1D022D46
	v_mfma_f32_16x16x32_fp8_fp8 v[68:71], a[64:65], a[24:25], v[68:71]// 000000007D30: D3F30044 1D123140
	buffer_load_dwordx4 a[108:111], v53, s[84:87], 0 offen offset:1024// 000000007D38: E05C1400 80956C35
	v_mfma_f32_16x16x32_fp8_fp8 v[68:71], a[66:67], a[26:27], v[68:71]// 000000007D40: D3F30044 1D123542
	v_mfma_f32_16x16x32_fp8_fp8 v[68:71], a[68:69], a[28:29], v[68:71]// 000000007D48: D3F30044 1D123944
	v_mfma_f32_16x16x32_fp8_fp8 v[68:71], a[70:71], a[30:31], v[68:71]// 000000007D50: D3F30044 1D123D46
	s_waitcnt vmcnt(8)                                         // 000000007D58: BF8C0F78
	v_mfma_f32_16x16x32_fp8_fp8 v[72:75], a[72:73], a[0:1], v[72:75]// 000000007D5C: D3F30048 1D220148
	buffer_load_dwordx4 a[112:115], v54, s[84:87], 0 offen     // 000000007D64: E05C1000 80957036
	v_mfma_f32_16x16x32_fp8_fp8 v[72:75], a[74:75], a[2:3], v[72:75]// 000000007D6C: D3F30048 1D22054A
	v_mfma_f32_16x16x32_fp8_fp8 v[72:75], a[76:77], a[4:5], v[72:75]// 000000007D74: D3F30048 1D22094C
	v_mfma_f32_16x16x32_fp8_fp8 v[72:75], a[78:79], a[6:7], v[72:75]// 000000007D7C: D3F30048 1D220D4E
	v_mfma_f32_16x16x32_fp8_fp8 v[76:79], a[72:73], a[8:9], v[76:79]// 000000007D84: D3F3004C 1D321148
	buffer_load_dwordx4 a[116:119], v54, s[84:87], 0 offen offset:1024// 000000007D8C: E05C1400 80957436
	v_mfma_f32_16x16x32_fp8_fp8 v[76:79], a[74:75], a[10:11], v[76:79]// 000000007D94: D3F3004C 1D32154A
	v_mfma_f32_16x16x32_fp8_fp8 v[76:79], a[76:77], a[12:13], v[76:79]// 000000007D9C: D3F3004C 1D32194C
	v_mfma_f32_16x16x32_fp8_fp8 v[76:79], a[78:79], a[14:15], v[76:79]// 000000007DA4: D3F3004C 1D321D4E
	v_mfma_f32_16x16x32_fp8_fp8 v[80:83], a[72:73], a[16:17], v[80:83]// 000000007DAC: D3F30050 1D422148
	buffer_load_dwordx4 a[120:123], v55, s[84:87], 0 offen     // 000000007DB4: E05C1000 80957837
	v_mfma_f32_16x16x32_fp8_fp8 v[80:83], a[74:75], a[18:19], v[80:83]// 000000007DBC: D3F30050 1D42254A
	v_mfma_f32_16x16x32_fp8_fp8 v[80:83], a[76:77], a[20:21], v[80:83]// 000000007DC4: D3F30050 1D42294C
	v_mfma_f32_16x16x32_fp8_fp8 v[80:83], a[78:79], a[22:23], v[80:83]// 000000007DCC: D3F30050 1D422D4E
	v_mfma_f32_16x16x32_fp8_fp8 v[84:87], a[72:73], a[24:25], v[84:87]// 000000007DD4: D3F30054 1D523148
	buffer_load_dwordx4 a[124:127], v55, s[84:87], 0 offen offset:1024// 000000007DDC: E05C1400 80957C37
	buffer_load_dword v44, s[20:23], 0 offen lds               // 000000007DE4: E0511000 8005002C
	s_add_u32 m0, 0x100, s48                                   // 000000007DEC: 807C30FF 00000100
	v_mfma_f32_16x16x32_fp8_fp8 v[84:87], a[74:75], a[26:27], v[84:87]// 000000007DF4: D3F30054 1D52354A
	v_mfma_f32_16x16x32_fp8_fp8 v[84:87], a[76:77], a[28:29], v[84:87]// 000000007DFC: D3F30054 1D52394C
	buffer_load_dword v45, s[20:23], 0 offen lds               // 000000007E04: E0511000 8005002D
	s_add_u32 m0, 0x200, s48                                   // 000000007E0C: 807C30FF 00000200
	v_mfma_f32_16x16x32_fp8_fp8 v[84:87], a[78:79], a[30:31], v[84:87]// 000000007E14: D3F30054 1D523D4E
	s_waitcnt vmcnt(12)                                        // 000000007E1C: BF8C0F7C
	v_mfma_f32_16x16x32_fp8_fp8 v[88:91], a[80:81], a[0:1], v[88:91]// 000000007E20: D3F30058 1D620150
	buffer_load_dword v46, s[20:23], 0 offen lds               // 000000007E28: E0511000 8005002E
	s_add_u32 m0, 0x300, s48                                   // 000000007E30: 807C30FF 00000300
	v_mfma_f32_16x16x32_fp8_fp8 v[88:91], a[82:83], a[2:3], v[88:91]// 000000007E38: D3F30058 1D620552
	v_mfma_f32_16x16x32_fp8_fp8 v[88:91], a[84:85], a[4:5], v[88:91]// 000000007E40: D3F30058 1D620954
	buffer_load_dword v47, s[20:23], 0 offen lds               // 000000007E48: E0511000 8005002F
	s_add_u32 m0, 0x400, s48                                   // 000000007E50: 807C30FF 00000400
	v_mfma_f32_16x16x32_fp8_fp8 v[88:91], a[86:87], a[6:7], v[88:91]// 000000007E58: D3F30058 1D620D56
	v_mfma_f32_16x16x32_fp8_fp8 v[92:95], a[80:81], a[8:9], v[92:95]// 000000007E60: D3F3005C 1D721150
	buffer_load_dword v48, s[20:23], 0 offen lds               // 000000007E68: E0511000 80050030
	s_add_u32 m0, 0x500, s48                                   // 000000007E70: 807C30FF 00000500
	v_mfma_f32_16x16x32_fp8_fp8 v[92:95], a[82:83], a[10:11], v[92:95]// 000000007E78: D3F3005C 1D721552
	v_mfma_f32_16x16x32_fp8_fp8 v[92:95], a[84:85], a[12:13], v[92:95]// 000000007E80: D3F3005C 1D721954
	buffer_load_dword v49, s[20:23], 0 offen lds               // 000000007E88: E0511000 80050031
	s_add_u32 m0, 0x600, s48                                   // 000000007E90: 807C30FF 00000600
	v_mfma_f32_16x16x32_fp8_fp8 v[92:95], a[86:87], a[14:15], v[92:95]// 000000007E98: D3F3005C 1D721D56
	v_mfma_f32_16x16x32_fp8_fp8 v[96:99], a[80:81], a[16:17], v[96:99]// 000000007EA0: D3F30060 1D822150
	buffer_load_dword v50, s[20:23], 0 offen lds               // 000000007EA8: E0511000 80050032
	s_add_u32 m0, 0x700, s48                                   // 000000007EB0: 807C30FF 00000700
	v_mfma_f32_16x16x32_fp8_fp8 v[96:99], a[82:83], a[18:19], v[96:99]// 000000007EB8: D3F30060 1D822552
	v_mfma_f32_16x16x32_fp8_fp8 v[96:99], a[84:85], a[20:21], v[96:99]// 000000007EC0: D3F30060 1D822954
	buffer_load_dword v51, s[20:23], 0 offen lds               // 000000007EC8: E0511000 80050033
	s_add_u32 m0, 0, s49                                       // 000000007ED0: 807C3180
	v_mfma_f32_16x16x32_fp8_fp8 v[96:99], a[86:87], a[22:23], v[96:99]// 000000007ED4: D3F30060 1D822D56
	v_mfma_f32_16x16x32_fp8_fp8 v[100:103], a[80:81], a[24:25], v[100:103]// 000000007EDC: D3F30064 1D923150
	v_mfma_f32_16x16x32_fp8_fp8 v[100:103], a[82:83], a[26:27], v[100:103]// 000000007EE4: D3F30064 1D923552
	v_mfma_f32_16x16x32_fp8_fp8 v[100:103], a[84:85], a[28:29], v[100:103]// 000000007EEC: D3F30064 1D923954
	v_mfma_f32_16x16x32_fp8_fp8 v[100:103], a[86:87], a[30:31], v[100:103]// 000000007EF4: D3F30064 1D923D56
	s_waitcnt vmcnt(16)                                        // 000000007EFC: BF8C4F70
	v_mfma_f32_16x16x32_fp8_fp8 v[104:107], a[88:89], a[0:1], v[104:107]// 000000007F00: D3F30068 1DA20158
	v_mfma_f32_16x16x32_fp8_fp8 v[104:107], a[90:91], a[2:3], v[104:107]// 000000007F08: D3F30068 1DA2055A
	v_mfma_f32_16x16x32_fp8_fp8 v[104:107], a[92:93], a[4:5], v[104:107]// 000000007F10: D3F30068 1DA2095C
	v_mfma_f32_16x16x32_fp8_fp8 v[104:107], a[94:95], a[6:7], v[104:107]// 000000007F18: D3F30068 1DA20D5E
	v_mfma_f32_16x16x32_fp8_fp8 v[108:111], a[88:89], a[8:9], v[108:111]// 000000007F20: D3F3006C 1DB21158
	v_mfma_f32_16x16x32_fp8_fp8 v[108:111], a[90:91], a[10:11], v[108:111]// 000000007F28: D3F3006C 1DB2155A
	v_mfma_f32_16x16x32_fp8_fp8 v[108:111], a[92:93], a[12:13], v[108:111]// 000000007F30: D3F3006C 1DB2195C
	v_mfma_f32_16x16x32_fp8_fp8 v[108:111], a[94:95], a[14:15], v[108:111]// 000000007F38: D3F3006C 1DB21D5E
	v_mfma_f32_16x16x32_fp8_fp8 v[112:115], a[88:89], a[16:17], v[112:115]// 000000007F40: D3F30070 1DC22158
	v_mfma_f32_16x16x32_fp8_fp8 v[112:115], a[90:91], a[18:19], v[112:115]// 000000007F48: D3F30070 1DC2255A
	v_mfma_f32_16x16x32_fp8_fp8 v[112:115], a[92:93], a[20:21], v[112:115]// 000000007F50: D3F30070 1DC2295C
	v_mfma_f32_16x16x32_fp8_fp8 v[112:115], a[94:95], a[22:23], v[112:115]// 000000007F58: D3F30070 1DC22D5E
	v_mfma_f32_16x16x32_fp8_fp8 v[116:119], a[88:89], a[24:25], v[116:119]// 000000007F60: D3F30074 1DD23158
	v_mfma_f32_16x16x32_fp8_fp8 v[116:119], a[90:91], a[26:27], v[116:119]// 000000007F68: D3F30074 1DD2355A
	s_add_u32 s60, 0x80, s80                                   // 000000007F70: 803C50FF 00000080
	s_cmp_lt_u32 s60, s81                                      // 000000007F78: BF0A513C
	s_cselect_b32 s83, s83, 0                                  // 000000007F7C: 85538053
	v_mfma_f32_16x16x32_fp8_fp8 v[116:119], a[92:93], a[28:29], v[116:119]// 000000007F80: D3F30074 1DD2395C
	v_mfma_f32_16x16x32_fp8_fp8 v[116:119], a[94:95], a[30:31], v[116:119]// 000000007F88: D3F30074 1DD23D5E
	s_waitcnt vmcnt(8)                                         // 000000007F90: BF8C0F78
	v_mfma_f32_16x16x32_fp8_fp8 v[120:123], a[96:97], a[0:1], v[120:123]// 000000007F94: D3F30078 1DE20160
	buffer_load_dwordx4 a[64:67], v52, s[24:27], 0 offen       // 000000007F9C: E05C1000 80864034
	v_mfma_f32_16x16x32_fp8_fp8 v[120:123], a[98:99], a[2:3], v[120:123]// 000000007FA4: D3F30078 1DE20562
	v_mfma_f32_16x16x32_fp8_fp8 v[120:123], a[100:101], a[4:5], v[120:123]// 000000007FAC: D3F30078 1DE20964
	ds_read_b128 a[32:35], v2 offset:8320                      // 000000007FB4: DBFE2080 20000002
	ds_read_b128 a[36:39], v2 offset:8384                      // 000000007FBC: DBFE20C0 24000002
	v_mfma_f32_16x16x32_fp8_fp8 v[120:123], a[102:103], a[6:7], v[120:123]// 000000007FC4: D3F30078 1DE20D66
	v_mfma_f32_16x16x32_fp8_fp8 v[136:139], a[104:105], a[0:1], v[136:139]// 000000007FCC: D3F30088 1E220168
	buffer_load_dwordx4 a[68:71], v52, s[24:27], 0 offen offset:1024// 000000007FD4: E05C1400 80864434
	v_mfma_f32_16x16x32_fp8_fp8 v[136:139], a[106:107], a[2:3], v[136:139]// 000000007FDC: D3F30088 1E22056A
	v_mfma_f32_16x16x32_fp8_fp8 v[136:139], a[108:109], a[4:5], v[136:139]// 000000007FE4: D3F30088 1E22096C
	ds_read_b128 a[40:43], v2 offset:8832                      // 000000007FEC: DBFE2280 28000002
	ds_read_b128 a[44:47], v2 offset:8896                      // 000000007FF4: DBFE22C0 2C000002
	v_mfma_f32_16x16x32_fp8_fp8 v[136:139], a[110:111], a[6:7], v[136:139]// 000000007FFC: D3F30088 1E220D6E
	v_mfma_f32_16x16x32_fp8_fp8 v[152:155], a[112:113], a[0:1], v[152:155]// 000000008004: D3F30098 1E620170
	buffer_load_dwordx4 a[72:75], v53, s[24:27], 0 offen       // 00000000800C: E05C1000 80864835
	v_mfma_f32_16x16x32_fp8_fp8 v[152:155], a[114:115], a[2:3], v[152:155]// 000000008014: D3F30098 1E620572
	v_mfma_f32_16x16x32_fp8_fp8 v[152:155], a[116:117], a[4:5], v[152:155]// 00000000801C: D3F30098 1E620974
	ds_read_b128 a[48:51], v2 offset:9344                      // 000000008024: DBFE2480 30000002
	ds_read_b128 a[52:55], v2 offset:9408                      // 00000000802C: DBFE24C0 34000002
	v_mfma_f32_16x16x32_fp8_fp8 v[152:155], a[118:119], a[6:7], v[152:155]// 000000008034: D3F30098 1E620D76
	v_mfma_f32_16x16x32_fp8_fp8 v[168:171], a[120:121], a[0:1], v[168:171]// 00000000803C: D3F300A8 1EA20178
	buffer_load_dwordx4 a[76:79], v53, s[24:27], 0 offen offset:1024// 000000008044: E05C1400 80864C35
	v_mfma_f32_16x16x32_fp8_fp8 v[168:171], a[122:123], a[2:3], v[168:171]// 00000000804C: D3F300A8 1EA2057A
	v_mfma_f32_16x16x32_fp8_fp8 v[168:171], a[124:125], a[4:5], v[168:171]// 000000008054: D3F300A8 1EA2097C
	ds_read_b128 a[56:59], v2 offset:9856                      // 00000000805C: DBFE2680 38000002
	ds_read_b128 a[60:63], v2 offset:9920                      // 000000008064: DBFE26C0 3C000002
	v_mfma_f32_16x16x32_fp8_fp8 v[168:171], a[126:127], a[6:7], v[168:171]// 00000000806C: D3F300A8 1EA20D7E
	v_mfma_f32_16x16x32_fp8_fp8 v[124:127], a[96:97], a[8:9], v[124:127]// 000000008074: D3F3007C 1DF21160
	buffer_load_dwordx4 a[80:83], v54, s[24:27], 0 offen       // 00000000807C: E05C1000 80865036
	v_mfma_f32_16x16x32_fp8_fp8 v[124:127], a[98:99], a[10:11], v[124:127]// 000000008084: D3F3007C 1DF21562
	v_mfma_f32_16x16x32_fp8_fp8 v[124:127], a[100:101], a[12:13], v[124:127]// 00000000808C: D3F3007C 1DF21964
	v_mfma_f32_16x16x32_fp8_fp8 v[124:127], a[102:103], a[14:15], v[124:127]// 000000008094: D3F3007C 1DF21D66
	v_mfma_f32_16x16x32_fp8_fp8 v[140:143], a[104:105], a[8:9], v[140:143]// 00000000809C: D3F3008C 1E321168
	buffer_load_dwordx4 a[84:87], v54, s[24:27], 0 offen offset:1024// 0000000080A4: E05C1400 80865436
	v_mfma_f32_16x16x32_fp8_fp8 v[140:143], a[106:107], a[10:11], v[140:143]// 0000000080AC: D3F3008C 1E32156A
	v_mfma_f32_16x16x32_fp8_fp8 v[140:143], a[108:109], a[12:13], v[140:143]// 0000000080B4: D3F3008C 1E32196C
	v_mfma_f32_16x16x32_fp8_fp8 v[140:143], a[110:111], a[14:15], v[140:143]// 0000000080BC: D3F3008C 1E321D6E
	v_mfma_f32_16x16x32_fp8_fp8 v[156:159], a[112:113], a[8:9], v[156:159]// 0000000080C4: D3F3009C 1E721170
	buffer_load_dwordx4 a[88:91], v55, s[24:27], 0 offen       // 0000000080CC: E05C1000 80865837
	v_mfma_f32_16x16x32_fp8_fp8 v[156:159], a[114:115], a[10:11], v[156:159]// 0000000080D4: D3F3009C 1E721572
	v_mfma_f32_16x16x32_fp8_fp8 v[156:159], a[116:117], a[12:13], v[156:159]// 0000000080DC: D3F3009C 1E721974
	v_mfma_f32_16x16x32_fp8_fp8 v[156:159], a[118:119], a[14:15], v[156:159]// 0000000080E4: D3F3009C 1E721D76
	v_mfma_f32_16x16x32_fp8_fp8 v[172:175], a[120:121], a[8:9], v[172:175]// 0000000080EC: D3F300AC 1EB21178
	buffer_load_dwordx4 a[92:95], v55, s[24:27], 0 offen offset:1024// 0000000080F4: E05C1400 80865C37
	v_mfma_f32_16x16x32_fp8_fp8 v[172:175], a[122:123], a[10:11], v[172:175]// 0000000080FC: D3F300AC 1EB2157A
	v_mfma_f32_16x16x32_fp8_fp8 v[172:175], a[124:125], a[12:13], v[172:175]// 000000008104: D3F300AC 1EB2197C
	v_mfma_f32_16x16x32_fp8_fp8 v[172:175], a[126:127], a[14:15], v[172:175]// 00000000810C: D3F300AC 1EB21D7E
	v_mfma_f32_16x16x32_fp8_fp8 v[128:131], a[96:97], a[16:17], v[128:131]// 000000008114: D3F30080 1E022160
	v_mfma_f32_16x16x32_fp8_fp8 v[128:131], a[98:99], a[18:19], v[128:131]// 00000000811C: D3F30080 1E022562
	v_mfma_f32_16x16x32_fp8_fp8 v[128:131], a[100:101], a[20:21], v[128:131]// 000000008124: D3F30080 1E022964
	v_mfma_f32_16x16x32_fp8_fp8 v[128:131], a[102:103], a[22:23], v[128:131]// 00000000812C: D3F30080 1E022D66
	v_mfma_f32_16x16x32_fp8_fp8 v[144:147], a[104:105], a[16:17], v[144:147]// 000000008134: D3F30090 1E422168
	v_mfma_f32_16x16x32_fp8_fp8 v[144:147], a[106:107], a[18:19], v[144:147]// 00000000813C: D3F30090 1E42256A
	v_mfma_f32_16x16x32_fp8_fp8 v[144:147], a[108:109], a[20:21], v[144:147]// 000000008144: D3F30090 1E42296C
	v_mfma_f32_16x16x32_fp8_fp8 v[144:147], a[110:111], a[22:23], v[144:147]// 00000000814C: D3F30090 1E422D6E
	v_mfma_f32_16x16x32_fp8_fp8 v[160:163], a[112:113], a[16:17], v[160:163]// 000000008154: D3F300A0 1E822170
	v_mfma_f32_16x16x32_fp8_fp8 v[160:163], a[114:115], a[18:19], v[160:163]// 00000000815C: D3F300A0 1E822572
	v_mfma_f32_16x16x32_fp8_fp8 v[160:163], a[116:117], a[20:21], v[160:163]// 000000008164: D3F300A0 1E822974
	v_mfma_f32_16x16x32_fp8_fp8 v[160:163], a[118:119], a[22:23], v[160:163]// 00000000816C: D3F300A0 1E822D76
	v_mfma_f32_16x16x32_fp8_fp8 v[176:179], a[120:121], a[16:17], v[176:179]// 000000008174: D3F300B0 1EC22178
	v_mfma_f32_16x16x32_fp8_fp8 v[176:179], a[122:123], a[18:19], v[176:179]// 00000000817C: D3F300B0 1EC2257A
	v_mfma_f32_16x16x32_fp8_fp8 v[176:179], a[124:125], a[20:21], v[176:179]// 000000008184: D3F300B0 1EC2297C
	v_mfma_f32_16x16x32_fp8_fp8 v[176:179], a[126:127], a[22:23], v[176:179]// 00000000818C: D3F300B0 1EC22D7E
	v_mfma_f32_16x16x32_fp8_fp8 v[132:135], a[96:97], a[24:25], v[132:135]// 000000008194: D3F30084 1E123160
	v_mfma_f32_16x16x32_fp8_fp8 v[132:135], a[98:99], a[26:27], v[132:135]// 00000000819C: D3F30084 1E123562
	v_mfma_f32_16x16x32_fp8_fp8 v[132:135], a[100:101], a[28:29], v[132:135]// 0000000081A4: D3F30084 1E123964
	v_mfma_f32_16x16x32_fp8_fp8 v[132:135], a[102:103], a[30:31], v[132:135]// 0000000081AC: D3F30084 1E123D66
	v_mfma_f32_16x16x32_fp8_fp8 v[148:151], a[104:105], a[24:25], v[148:151]// 0000000081B4: D3F30094 1E523168
	v_mfma_f32_16x16x32_fp8_fp8 v[148:151], a[106:107], a[26:27], v[148:151]// 0000000081BC: D3F30094 1E52356A
	v_mfma_f32_16x16x32_fp8_fp8 v[148:151], a[108:109], a[28:29], v[148:151]// 0000000081C4: D3F30094 1E52396C
	v_mfma_f32_16x16x32_fp8_fp8 v[148:151], a[110:111], a[30:31], v[148:151]// 0000000081CC: D3F30094 1E523D6E
	v_mfma_f32_16x16x32_fp8_fp8 v[164:167], a[112:113], a[24:25], v[164:167]// 0000000081D4: D3F300A4 1E923170
	v_mfma_f32_16x16x32_fp8_fp8 v[164:167], a[114:115], a[26:27], v[164:167]// 0000000081DC: D3F300A4 1E923572
	v_mfma_f32_16x16x32_fp8_fp8 v[164:167], a[116:117], a[28:29], v[164:167]// 0000000081E4: D3F300A4 1E923974
	s_add_u32 s60, 0x180, s80                                  // 0000000081EC: 803C50FF 00000180
	s_cmp_lt_u32 s60, s81                                      // 0000000081F4: BF0A513C
	s_cselect_b32 s57, s57, 0                                  // 0000000081F8: 85398039
	v_mfma_f32_16x16x32_fp8_fp8 v[164:167], a[118:119], a[30:31], v[164:167]// 0000000081FC: D3F300A4 1E923D76
	s_add_u32 s60, 0x100, s80                                  // 000000008204: 803C50FF 00000100
	s_cmp_lt_u32 s60, s81                                      // 00000000820C: BF0A513C
	s_cselect_b32 s58, s58, 0                                  // 000000008210: 853A803A
	v_mfma_f32_16x16x32_fp8_fp8 v[180:183], a[120:121], a[24:25], v[180:183]// 000000008214: D3F300B4 1ED23178
	s_add_u32 s24, s58, s24                                    // 00000000821C: 8018183A
	s_addc_u32 s25, 0, s25                                     // 000000008220: 82191980
	v_mfma_f32_16x16x32_fp8_fp8 v[180:183], a[122:123], a[26:27], v[180:183]// 000000008224: D3F300B4 1ED2357A
	s_add_u32 s20, s57, s20                                    // 00000000822C: 80141439
	s_addc_u32 s21, 0, s21                                     // 000000008230: 82151580
	v_mfma_f32_16x16x32_fp8_fp8 v[180:183], a[124:125], a[28:29], v[180:183]// 000000008234: D3F300B4 1ED2397C
	s_add_u32 s84, s83, s84                                    // 00000000823C: 80545453
	s_addc_u32 s85, 0, s85                                     // 000000008240: 82555580
	v_mfma_f32_16x16x32_fp8_fp8 v[180:183], a[126:127], a[30:31], v[180:183]// 000000008244: D3F300B4 1ED23D7E
	s_addk_i32 s80, 0x80                                       // 00000000824C: B7500080
	s_cmp_lt_i32 s80, s81                                      // 000000008250: BF045150
	s_cbranch_scc0 label_1784                                  // 000000008254: BF84016B
	s_waitcnt vmcnt(6) lgkmcnt(0)                              // 000000008258: BF8C0076
	s_barrier                                                  // 00000000825C: BF8A0000
	v_mfma_f32_16x16x32_fp8_fp8 v[56:59], a[64:65], a[32:33], v[56:59]// 000000008260: D3F30038 1CE24140
	buffer_load_dwordx4 a[96:99], v52, s[84:87], 0 offen       // 000000008268: E05C1000 80956034
	v_mfma_f32_16x16x32_fp8_fp8 v[56:59], a[66:67], a[34:35], v[56:59]// 000000008270: D3F30038 1CE24542
	v_mfma_f32_16x16x32_fp8_fp8 v[56:59], a[68:69], a[36:37], v[56:59]// 000000008278: D3F30038 1CE24944
	v_mfma_f32_16x16x32_fp8_fp8 v[56:59], a[70:71], a[38:39], v[56:59]// 000000008280: D3F30038 1CE24D46
	v_mfma_f32_16x16x32_fp8_fp8 v[60:63], a[64:65], a[40:41], v[60:63]// 000000008288: D3F3003C 1CF25140
	buffer_load_dwordx4 a[100:103], v52, s[84:87], 0 offen offset:1024// 000000008290: E05C1400 80956434
	v_mfma_f32_16x16x32_fp8_fp8 v[60:63], a[66:67], a[42:43], v[60:63]// 000000008298: D3F3003C 1CF25542
	v_mfma_f32_16x16x32_fp8_fp8 v[60:63], a[68:69], a[44:45], v[60:63]// 0000000082A0: D3F3003C 1CF25944
	v_mfma_f32_16x16x32_fp8_fp8 v[60:63], a[70:71], a[46:47], v[60:63]// 0000000082A8: D3F3003C 1CF25D46
	v_mfma_f32_16x16x32_fp8_fp8 v[64:67], a[64:65], a[48:49], v[64:67]// 0000000082B0: D3F30040 1D026140
	buffer_load_dwordx4 a[104:107], v53, s[84:87], 0 offen     // 0000000082B8: E05C1000 80956835
	v_mfma_f32_16x16x32_fp8_fp8 v[64:67], a[66:67], a[50:51], v[64:67]// 0000000082C0: D3F30040 1D026542
	v_mfma_f32_16x16x32_fp8_fp8 v[64:67], a[68:69], a[52:53], v[64:67]// 0000000082C8: D3F30040 1D026944
	v_mfma_f32_16x16x32_fp8_fp8 v[64:67], a[70:71], a[54:55], v[64:67]// 0000000082D0: D3F30040 1D026D46
	v_mfma_f32_16x16x32_fp8_fp8 v[68:71], a[64:65], a[56:57], v[68:71]// 0000000082D8: D3F30044 1D127140
	buffer_load_dwordx4 a[108:111], v53, s[84:87], 0 offen offset:1024// 0000000082E0: E05C1400 80956C35
	v_mfma_f32_16x16x32_fp8_fp8 v[68:71], a[66:67], a[58:59], v[68:71]// 0000000082E8: D3F30044 1D127542
	v_mfma_f32_16x16x32_fp8_fp8 v[68:71], a[68:69], a[60:61], v[68:71]// 0000000082F0: D3F30044 1D127944
	v_mfma_f32_16x16x32_fp8_fp8 v[68:71], a[70:71], a[62:63], v[68:71]// 0000000082F8: D3F30044 1D127D46
	s_waitcnt vmcnt(8)                                         // 000000008300: BF8C0F78
	v_mfma_f32_16x16x32_fp8_fp8 v[72:75], a[72:73], a[32:33], v[72:75]// 000000008304: D3F30048 1D224148
	buffer_load_dwordx4 a[112:115], v54, s[84:87], 0 offen     // 00000000830C: E05C1000 80957036
	v_mfma_f32_16x16x32_fp8_fp8 v[72:75], a[74:75], a[34:35], v[72:75]// 000000008314: D3F30048 1D22454A
	v_mfma_f32_16x16x32_fp8_fp8 v[72:75], a[76:77], a[36:37], v[72:75]// 00000000831C: D3F30048 1D22494C
	v_mfma_f32_16x16x32_fp8_fp8 v[72:75], a[78:79], a[38:39], v[72:75]// 000000008324: D3F30048 1D224D4E
	v_mfma_f32_16x16x32_fp8_fp8 v[76:79], a[72:73], a[40:41], v[76:79]// 00000000832C: D3F3004C 1D325148
	buffer_load_dwordx4 a[116:119], v54, s[84:87], 0 offen offset:1024// 000000008334: E05C1400 80957436
	v_mfma_f32_16x16x32_fp8_fp8 v[76:79], a[74:75], a[42:43], v[76:79]// 00000000833C: D3F3004C 1D32554A
	v_mfma_f32_16x16x32_fp8_fp8 v[76:79], a[76:77], a[44:45], v[76:79]// 000000008344: D3F3004C 1D32594C
	v_mfma_f32_16x16x32_fp8_fp8 v[76:79], a[78:79], a[46:47], v[76:79]// 00000000834C: D3F3004C 1D325D4E
	v_mfma_f32_16x16x32_fp8_fp8 v[80:83], a[72:73], a[48:49], v[80:83]// 000000008354: D3F30050 1D426148
	buffer_load_dwordx4 a[120:123], v55, s[84:87], 0 offen     // 00000000835C: E05C1000 80957837
	v_mfma_f32_16x16x32_fp8_fp8 v[80:83], a[74:75], a[50:51], v[80:83]// 000000008364: D3F30050 1D42654A
	v_mfma_f32_16x16x32_fp8_fp8 v[80:83], a[76:77], a[52:53], v[80:83]// 00000000836C: D3F30050 1D42694C
	v_mfma_f32_16x16x32_fp8_fp8 v[80:83], a[78:79], a[54:55], v[80:83]// 000000008374: D3F30050 1D426D4E
	v_mfma_f32_16x16x32_fp8_fp8 v[84:87], a[72:73], a[56:57], v[84:87]// 00000000837C: D3F30054 1D527148
	buffer_load_dwordx4 a[124:127], v55, s[84:87], 0 offen offset:1024// 000000008384: E05C1400 80957C37
	buffer_load_dword v44, s[20:23], 0 offen lds               // 00000000838C: E0511000 8005002C
	s_add_u32 m0, 0x100, s49                                   // 000000008394: 807C31FF 00000100
	v_mfma_f32_16x16x32_fp8_fp8 v[84:87], a[74:75], a[58:59], v[84:87]// 00000000839C: D3F30054 1D52754A
	v_mfma_f32_16x16x32_fp8_fp8 v[84:87], a[76:77], a[60:61], v[84:87]// 0000000083A4: D3F30054 1D52794C
	buffer_load_dword v45, s[20:23], 0 offen lds               // 0000000083AC: E0511000 8005002D
	s_add_u32 m0, 0x200, s49                                   // 0000000083B4: 807C31FF 00000200
	v_mfma_f32_16x16x32_fp8_fp8 v[84:87], a[78:79], a[62:63], v[84:87]// 0000000083BC: D3F30054 1D527D4E
	s_waitcnt vmcnt(12)                                        // 0000000083C4: BF8C0F7C
	v_mfma_f32_16x16x32_fp8_fp8 v[88:91], a[80:81], a[32:33], v[88:91]// 0000000083C8: D3F30058 1D624150
	buffer_load_dword v46, s[20:23], 0 offen lds               // 0000000083D0: E0511000 8005002E
	s_add_u32 m0, 0x300, s49                                   // 0000000083D8: 807C31FF 00000300
	v_mfma_f32_16x16x32_fp8_fp8 v[88:91], a[82:83], a[34:35], v[88:91]// 0000000083E0: D3F30058 1D624552
	v_mfma_f32_16x16x32_fp8_fp8 v[88:91], a[84:85], a[36:37], v[88:91]// 0000000083E8: D3F30058 1D624954
	buffer_load_dword v47, s[20:23], 0 offen lds               // 0000000083F0: E0511000 8005002F
	s_add_u32 m0, 0x400, s49                                   // 0000000083F8: 807C31FF 00000400
	v_mfma_f32_16x16x32_fp8_fp8 v[88:91], a[86:87], a[38:39], v[88:91]// 000000008400: D3F30058 1D624D56
	v_mfma_f32_16x16x32_fp8_fp8 v[92:95], a[80:81], a[40:41], v[92:95]// 000000008408: D3F3005C 1D725150
	buffer_load_dword v48, s[20:23], 0 offen lds               // 000000008410: E0511000 80050030
	s_add_u32 m0, 0x500, s49                                   // 000000008418: 807C31FF 00000500
	v_mfma_f32_16x16x32_fp8_fp8 v[92:95], a[82:83], a[42:43], v[92:95]// 000000008420: D3F3005C 1D725552
	v_mfma_f32_16x16x32_fp8_fp8 v[92:95], a[84:85], a[44:45], v[92:95]// 000000008428: D3F3005C 1D725954
	buffer_load_dword v49, s[20:23], 0 offen lds               // 000000008430: E0511000 80050031
	s_add_u32 m0, 0x600, s49                                   // 000000008438: 807C31FF 00000600
	v_mfma_f32_16x16x32_fp8_fp8 v[92:95], a[86:87], a[46:47], v[92:95]// 000000008440: D3F3005C 1D725D56
	v_mfma_f32_16x16x32_fp8_fp8 v[96:99], a[80:81], a[48:49], v[96:99]// 000000008448: D3F30060 1D826150
	buffer_load_dword v50, s[20:23], 0 offen lds               // 000000008450: E0511000 80050032
	s_add_u32 m0, 0x700, s49                                   // 000000008458: 807C31FF 00000700
	v_mfma_f32_16x16x32_fp8_fp8 v[96:99], a[82:83], a[50:51], v[96:99]// 000000008460: D3F30060 1D826552
	v_mfma_f32_16x16x32_fp8_fp8 v[96:99], a[84:85], a[52:53], v[96:99]// 000000008468: D3F30060 1D826954
	buffer_load_dword v51, s[20:23], 0 offen lds               // 000000008470: E0511000 80050033
	s_add_u32 m0, 0, s48                                       // 000000008478: 807C3080
	v_mfma_f32_16x16x32_fp8_fp8 v[96:99], a[86:87], a[54:55], v[96:99]// 00000000847C: D3F30060 1D826D56
	v_mfma_f32_16x16x32_fp8_fp8 v[100:103], a[80:81], a[56:57], v[100:103]// 000000008484: D3F30064 1D927150
	v_mfma_f32_16x16x32_fp8_fp8 v[100:103], a[82:83], a[58:59], v[100:103]// 00000000848C: D3F30064 1D927552
	v_mfma_f32_16x16x32_fp8_fp8 v[100:103], a[84:85], a[60:61], v[100:103]// 000000008494: D3F30064 1D927954
	v_mfma_f32_16x16x32_fp8_fp8 v[100:103], a[86:87], a[62:63], v[100:103]// 00000000849C: D3F30064 1D927D56
	s_waitcnt vmcnt(16)                                        // 0000000084A4: BF8C4F70
	v_mfma_f32_16x16x32_fp8_fp8 v[104:107], a[88:89], a[32:33], v[104:107]// 0000000084A8: D3F30068 1DA24158
	v_mfma_f32_16x16x32_fp8_fp8 v[104:107], a[90:91], a[34:35], v[104:107]// 0000000084B0: D3F30068 1DA2455A
	v_mfma_f32_16x16x32_fp8_fp8 v[104:107], a[92:93], a[36:37], v[104:107]// 0000000084B8: D3F30068 1DA2495C
	v_mfma_f32_16x16x32_fp8_fp8 v[104:107], a[94:95], a[38:39], v[104:107]// 0000000084C0: D3F30068 1DA24D5E
	v_mfma_f32_16x16x32_fp8_fp8 v[108:111], a[88:89], a[40:41], v[108:111]// 0000000084C8: D3F3006C 1DB25158
	v_mfma_f32_16x16x32_fp8_fp8 v[108:111], a[90:91], a[42:43], v[108:111]// 0000000084D0: D3F3006C 1DB2555A
	v_mfma_f32_16x16x32_fp8_fp8 v[108:111], a[92:93], a[44:45], v[108:111]// 0000000084D8: D3F3006C 1DB2595C
	v_mfma_f32_16x16x32_fp8_fp8 v[108:111], a[94:95], a[46:47], v[108:111]// 0000000084E0: D3F3006C 1DB25D5E
	v_mfma_f32_16x16x32_fp8_fp8 v[112:115], a[88:89], a[48:49], v[112:115]// 0000000084E8: D3F30070 1DC26158
	v_mfma_f32_16x16x32_fp8_fp8 v[112:115], a[90:91], a[50:51], v[112:115]// 0000000084F0: D3F30070 1DC2655A
	v_mfma_f32_16x16x32_fp8_fp8 v[112:115], a[92:93], a[52:53], v[112:115]// 0000000084F8: D3F30070 1DC2695C
	v_mfma_f32_16x16x32_fp8_fp8 v[112:115], a[94:95], a[54:55], v[112:115]// 000000008500: D3F30070 1DC26D5E
	v_mfma_f32_16x16x32_fp8_fp8 v[116:119], a[88:89], a[56:57], v[116:119]// 000000008508: D3F30074 1DD27158
	v_mfma_f32_16x16x32_fp8_fp8 v[116:119], a[90:91], a[58:59], v[116:119]// 000000008510: D3F30074 1DD2755A
	s_add_u32 s60, 0x80, s80                                   // 000000008518: 803C50FF 00000080
	s_cmp_lt_u32 s60, s81                                      // 000000008520: BF0A513C
	s_cselect_b32 s83, s83, 0                                  // 000000008524: 85538053
	v_mfma_f32_16x16x32_fp8_fp8 v[116:119], a[92:93], a[60:61], v[116:119]// 000000008528: D3F30074 1DD2795C
	v_mfma_f32_16x16x32_fp8_fp8 v[116:119], a[94:95], a[62:63], v[116:119]// 000000008530: D3F30074 1DD27D5E
	s_waitcnt vmcnt(8)                                         // 000000008538: BF8C0F78
	v_mfma_f32_16x16x32_fp8_fp8 v[120:123], a[96:97], a[32:33], v[120:123]// 00000000853C: D3F30078 1DE24160
	buffer_load_dwordx4 a[64:67], v52, s[24:27], 0 offen       // 000000008544: E05C1000 80864034
	v_mfma_f32_16x16x32_fp8_fp8 v[120:123], a[98:99], a[34:35], v[120:123]// 00000000854C: D3F30078 1DE24562
	v_mfma_f32_16x16x32_fp8_fp8 v[120:123], a[100:101], a[36:37], v[120:123]// 000000008554: D3F30078 1DE24964
	ds_read_b128 a[0:3], v2                                    // 00000000855C: DBFE0000 00000002
	ds_read_b128 a[4:7], v2 offset:64                          // 000000008564: DBFE0040 04000002
	v_mfma_f32_16x16x32_fp8_fp8 v[120:123], a[102:103], a[38:39], v[120:123]// 00000000856C: D3F30078 1DE24D66
	v_mfma_f32_16x16x32_fp8_fp8 v[136:139], a[104:105], a[32:33], v[136:139]// 000000008574: D3F30088 1E224168
	buffer_load_dwordx4 a[68:71], v52, s[24:27], 0 offen offset:1024// 00000000857C: E05C1400 80864434
	v_mfma_f32_16x16x32_fp8_fp8 v[136:139], a[106:107], a[34:35], v[136:139]// 000000008584: D3F30088 1E22456A
	v_mfma_f32_16x16x32_fp8_fp8 v[136:139], a[108:109], a[36:37], v[136:139]// 00000000858C: D3F30088 1E22496C
	ds_read_b128 a[8:11], v2 offset:512                        // 000000008594: DBFE0200 08000002
	ds_read_b128 a[12:15], v2 offset:576                       // 00000000859C: DBFE0240 0C000002
	v_mfma_f32_16x16x32_fp8_fp8 v[136:139], a[110:111], a[38:39], v[136:139]// 0000000085A4: D3F30088 1E224D6E
	v_mfma_f32_16x16x32_fp8_fp8 v[152:155], a[112:113], a[32:33], v[152:155]// 0000000085AC: D3F30098 1E624170
	buffer_load_dwordx4 a[72:75], v53, s[24:27], 0 offen       // 0000000085B4: E05C1000 80864835
	v_mfma_f32_16x16x32_fp8_fp8 v[152:155], a[114:115], a[34:35], v[152:155]// 0000000085BC: D3F30098 1E624572
	v_mfma_f32_16x16x32_fp8_fp8 v[152:155], a[116:117], a[36:37], v[152:155]// 0000000085C4: D3F30098 1E624974
	ds_read_b128 a[16:19], v2 offset:1024                      // 0000000085CC: DBFE0400 10000002
	ds_read_b128 a[20:23], v2 offset:1088                      // 0000000085D4: DBFE0440 14000002
	v_mfma_f32_16x16x32_fp8_fp8 v[152:155], a[118:119], a[38:39], v[152:155]// 0000000085DC: D3F30098 1E624D76
	v_mfma_f32_16x16x32_fp8_fp8 v[168:171], a[120:121], a[32:33], v[168:171]// 0000000085E4: D3F300A8 1EA24178
	buffer_load_dwordx4 a[76:79], v53, s[24:27], 0 offen offset:1024// 0000000085EC: E05C1400 80864C35
	v_mfma_f32_16x16x32_fp8_fp8 v[168:171], a[122:123], a[34:35], v[168:171]// 0000000085F4: D3F300A8 1EA2457A
	v_mfma_f32_16x16x32_fp8_fp8 v[168:171], a[124:125], a[36:37], v[168:171]// 0000000085FC: D3F300A8 1EA2497C
	ds_read_b128 a[24:27], v2 offset:1536                      // 000000008604: DBFE0600 18000002
	ds_read_b128 a[28:31], v2 offset:1600                      // 00000000860C: DBFE0640 1C000002
	v_mfma_f32_16x16x32_fp8_fp8 v[168:171], a[126:127], a[38:39], v[168:171]// 000000008614: D3F300A8 1EA24D7E
	v_mfma_f32_16x16x32_fp8_fp8 v[124:127], a[96:97], a[40:41], v[124:127]// 00000000861C: D3F3007C 1DF25160
	buffer_load_dwordx4 a[80:83], v54, s[24:27], 0 offen       // 000000008624: E05C1000 80865036
	v_mfma_f32_16x16x32_fp8_fp8 v[124:127], a[98:99], a[42:43], v[124:127]// 00000000862C: D3F3007C 1DF25562
	v_mfma_f32_16x16x32_fp8_fp8 v[124:127], a[100:101], a[44:45], v[124:127]// 000000008634: D3F3007C 1DF25964
	v_mfma_f32_16x16x32_fp8_fp8 v[124:127], a[102:103], a[46:47], v[124:127]// 00000000863C: D3F3007C 1DF25D66
	v_mfma_f32_16x16x32_fp8_fp8 v[140:143], a[104:105], a[40:41], v[140:143]// 000000008644: D3F3008C 1E325168
	buffer_load_dwordx4 a[84:87], v54, s[24:27], 0 offen offset:1024// 00000000864C: E05C1400 80865436
	v_mfma_f32_16x16x32_fp8_fp8 v[140:143], a[106:107], a[42:43], v[140:143]// 000000008654: D3F3008C 1E32556A
	v_mfma_f32_16x16x32_fp8_fp8 v[140:143], a[108:109], a[44:45], v[140:143]// 00000000865C: D3F3008C 1E32596C
	v_mfma_f32_16x16x32_fp8_fp8 v[140:143], a[110:111], a[46:47], v[140:143]// 000000008664: D3F3008C 1E325D6E
	v_mfma_f32_16x16x32_fp8_fp8 v[156:159], a[112:113], a[40:41], v[156:159]// 00000000866C: D3F3009C 1E725170
	buffer_load_dwordx4 a[88:91], v55, s[24:27], 0 offen       // 000000008674: E05C1000 80865837
	v_mfma_f32_16x16x32_fp8_fp8 v[156:159], a[114:115], a[42:43], v[156:159]// 00000000867C: D3F3009C 1E725572
	v_mfma_f32_16x16x32_fp8_fp8 v[156:159], a[116:117], a[44:45], v[156:159]// 000000008684: D3F3009C 1E725974
	v_mfma_f32_16x16x32_fp8_fp8 v[156:159], a[118:119], a[46:47], v[156:159]// 00000000868C: D3F3009C 1E725D76
	v_mfma_f32_16x16x32_fp8_fp8 v[172:175], a[120:121], a[40:41], v[172:175]// 000000008694: D3F300AC 1EB25178
	buffer_load_dwordx4 a[92:95], v55, s[24:27], 0 offen offset:1024// 00000000869C: E05C1400 80865C37
	v_mfma_f32_16x16x32_fp8_fp8 v[172:175], a[122:123], a[42:43], v[172:175]// 0000000086A4: D3F300AC 1EB2557A
	v_mfma_f32_16x16x32_fp8_fp8 v[172:175], a[124:125], a[44:45], v[172:175]// 0000000086AC: D3F300AC 1EB2597C
	v_mfma_f32_16x16x32_fp8_fp8 v[172:175], a[126:127], a[46:47], v[172:175]// 0000000086B4: D3F300AC 1EB25D7E
	v_mfma_f32_16x16x32_fp8_fp8 v[128:131], a[96:97], a[48:49], v[128:131]// 0000000086BC: D3F30080 1E026160
	v_mfma_f32_16x16x32_fp8_fp8 v[128:131], a[98:99], a[50:51], v[128:131]// 0000000086C4: D3F30080 1E026562
	v_mfma_f32_16x16x32_fp8_fp8 v[128:131], a[100:101], a[52:53], v[128:131]// 0000000086CC: D3F30080 1E026964
	v_mfma_f32_16x16x32_fp8_fp8 v[128:131], a[102:103], a[54:55], v[128:131]// 0000000086D4: D3F30080 1E026D66
	v_mfma_f32_16x16x32_fp8_fp8 v[144:147], a[104:105], a[48:49], v[144:147]// 0000000086DC: D3F30090 1E426168
	v_mfma_f32_16x16x32_fp8_fp8 v[144:147], a[106:107], a[50:51], v[144:147]// 0000000086E4: D3F30090 1E42656A
	v_mfma_f32_16x16x32_fp8_fp8 v[144:147], a[108:109], a[52:53], v[144:147]// 0000000086EC: D3F30090 1E42696C
	v_mfma_f32_16x16x32_fp8_fp8 v[144:147], a[110:111], a[54:55], v[144:147]// 0000000086F4: D3F30090 1E426D6E
	v_mfma_f32_16x16x32_fp8_fp8 v[160:163], a[112:113], a[48:49], v[160:163]// 0000000086FC: D3F300A0 1E826170
	v_mfma_f32_16x16x32_fp8_fp8 v[160:163], a[114:115], a[50:51], v[160:163]// 000000008704: D3F300A0 1E826572
	v_mfma_f32_16x16x32_fp8_fp8 v[160:163], a[116:117], a[52:53], v[160:163]// 00000000870C: D3F300A0 1E826974
	v_mfma_f32_16x16x32_fp8_fp8 v[160:163], a[118:119], a[54:55], v[160:163]// 000000008714: D3F300A0 1E826D76
	v_mfma_f32_16x16x32_fp8_fp8 v[176:179], a[120:121], a[48:49], v[176:179]// 00000000871C: D3F300B0 1EC26178
	v_mfma_f32_16x16x32_fp8_fp8 v[176:179], a[122:123], a[50:51], v[176:179]// 000000008724: D3F300B0 1EC2657A
	v_mfma_f32_16x16x32_fp8_fp8 v[176:179], a[124:125], a[52:53], v[176:179]// 00000000872C: D3F300B0 1EC2697C
	v_mfma_f32_16x16x32_fp8_fp8 v[176:179], a[126:127], a[54:55], v[176:179]// 000000008734: D3F300B0 1EC26D7E
	v_mfma_f32_16x16x32_fp8_fp8 v[132:135], a[96:97], a[56:57], v[132:135]// 00000000873C: D3F30084 1E127160
	v_mfma_f32_16x16x32_fp8_fp8 v[132:135], a[98:99], a[58:59], v[132:135]// 000000008744: D3F30084 1E127562
	v_mfma_f32_16x16x32_fp8_fp8 v[132:135], a[100:101], a[60:61], v[132:135]// 00000000874C: D3F30084 1E127964
	v_mfma_f32_16x16x32_fp8_fp8 v[132:135], a[102:103], a[62:63], v[132:135]// 000000008754: D3F30084 1E127D66
	v_mfma_f32_16x16x32_fp8_fp8 v[148:151], a[104:105], a[56:57], v[148:151]// 00000000875C: D3F30094 1E527168
	v_mfma_f32_16x16x32_fp8_fp8 v[148:151], a[106:107], a[58:59], v[148:151]// 000000008764: D3F30094 1E52756A
	v_mfma_f32_16x16x32_fp8_fp8 v[148:151], a[108:109], a[60:61], v[148:151]// 00000000876C: D3F30094 1E52796C
	v_mfma_f32_16x16x32_fp8_fp8 v[148:151], a[110:111], a[62:63], v[148:151]// 000000008774: D3F30094 1E527D6E
	v_mfma_f32_16x16x32_fp8_fp8 v[164:167], a[112:113], a[56:57], v[164:167]// 00000000877C: D3F300A4 1E927170
	v_mfma_f32_16x16x32_fp8_fp8 v[164:167], a[114:115], a[58:59], v[164:167]// 000000008784: D3F300A4 1E927572
	v_mfma_f32_16x16x32_fp8_fp8 v[164:167], a[116:117], a[60:61], v[164:167]// 00000000878C: D3F300A4 1E927974
	s_add_u32 s60, 0x180, s80                                  // 000000008794: 803C50FF 00000180
	s_cmp_lt_u32 s60, s81                                      // 00000000879C: BF0A513C
	s_cselect_b32 s57, s57, 0                                  // 0000000087A0: 85398039
	v_mfma_f32_16x16x32_fp8_fp8 v[164:167], a[118:119], a[62:63], v[164:167]// 0000000087A4: D3F300A4 1E927D76
	s_add_u32 s60, 0x100, s80                                  // 0000000087AC: 803C50FF 00000100
	s_cmp_lt_u32 s60, s81                                      // 0000000087B4: BF0A513C
	s_cselect_b32 s58, s58, 0                                  // 0000000087B8: 853A803A
	v_mfma_f32_16x16x32_fp8_fp8 v[180:183], a[120:121], a[56:57], v[180:183]// 0000000087BC: D3F300B4 1ED27178
	s_add_u32 s24, s58, s24                                    // 0000000087C4: 8018183A
	s_addc_u32 s25, 0, s25                                     // 0000000087C8: 82191980
	v_mfma_f32_16x16x32_fp8_fp8 v[180:183], a[122:123], a[58:59], v[180:183]// 0000000087CC: D3F300B4 1ED2757A
	s_add_u32 s20, s57, s20                                    // 0000000087D4: 80141439
	s_addc_u32 s21, 0, s21                                     // 0000000087D8: 82151580
	v_mfma_f32_16x16x32_fp8_fp8 v[180:183], a[124:125], a[60:61], v[180:183]// 0000000087DC: D3F300B4 1ED2797C
	s_add_u32 s84, s83, s84                                    // 0000000087E4: 80545453
	s_addc_u32 s85, 0, s85                                     // 0000000087E8: 82555580
	v_mfma_f32_16x16x32_fp8_fp8 v[180:183], a[126:127], a[62:63], v[180:183]// 0000000087EC: D3F300B4 1ED27D7E
	s_addk_i32 s80, 0x80                                       // 0000000087F4: B7500080
	s_cmp_lt_i32 s80, s81                                      // 0000000087F8: BF045150
	s_cbranch_scc0 label_1784                                  // 0000000087FC: BF840001
	s_branch label_14AF                                        // 000000008800: BF82FD2B

0000000000008804 <label_1784>:
	v_mul_f32_dpp v56, v24, v56 row_newbcast:0 row_mask:0xf bank_mask:0xf// 000000008804: 0A7070FA FF015018
	v_mul_f32_dpp v57, v24, v57 row_newbcast:1 row_mask:0xf bank_mask:0xf// 00000000880C: 0A7272FA FF015118
	v_mul_f32_dpp v58, v24, v58 row_newbcast:2 row_mask:0xf bank_mask:0xf// 000000008814: 0A7474FA FF015218
	v_mul_f32_dpp v59, v24, v59 row_newbcast:3 row_mask:0xf bank_mask:0xf// 00000000881C: 0A7676FA FF015318
	v_mul_f32_dpp v60, v24, v60 row_newbcast:0 row_mask:0xf bank_mask:0xf// 000000008824: 0A7878FA FF015018
	v_mul_f32_dpp v61, v24, v61 row_newbcast:1 row_mask:0xf bank_mask:0xf// 00000000882C: 0A7A7AFA FF015118
	v_mul_f32_dpp v62, v24, v62 row_newbcast:2 row_mask:0xf bank_mask:0xf// 000000008834: 0A7C7CFA FF015218
	v_mul_f32_dpp v63, v24, v63 row_newbcast:3 row_mask:0xf bank_mask:0xf// 00000000883C: 0A7E7EFA FF015318
	v_mul_f32_dpp v64, v24, v64 row_newbcast:0 row_mask:0xf bank_mask:0xf// 000000008844: 0A8080FA FF015018
	v_mul_f32_dpp v65, v24, v65 row_newbcast:1 row_mask:0xf bank_mask:0xf// 00000000884C: 0A8282FA FF015118
	v_mul_f32_dpp v66, v24, v66 row_newbcast:2 row_mask:0xf bank_mask:0xf// 000000008854: 0A8484FA FF015218
	v_mul_f32_dpp v67, v24, v67 row_newbcast:3 row_mask:0xf bank_mask:0xf// 00000000885C: 0A8686FA FF015318
	v_mul_f32_dpp v68, v24, v68 row_newbcast:0 row_mask:0xf bank_mask:0xf// 000000008864: 0A8888FA FF015018
	v_mul_f32_dpp v69, v24, v69 row_newbcast:1 row_mask:0xf bank_mask:0xf// 00000000886C: 0A8A8AFA FF015118
	v_mul_f32_dpp v70, v24, v70 row_newbcast:2 row_mask:0xf bank_mask:0xf// 000000008874: 0A8C8CFA FF015218
	v_mul_f32_dpp v71, v24, v71 row_newbcast:3 row_mask:0xf bank_mask:0xf// 00000000887C: 0A8E8EFA FF015318
	v_mul_f32_dpp v72, v24, v72 row_newbcast:4 row_mask:0xf bank_mask:0xf// 000000008884: 0A9090FA FF015418
	v_mul_f32_dpp v73, v24, v73 row_newbcast:5 row_mask:0xf bank_mask:0xf// 00000000888C: 0A9292FA FF015518
	v_mul_f32_dpp v74, v24, v74 row_newbcast:6 row_mask:0xf bank_mask:0xf// 000000008894: 0A9494FA FF015618
	v_mul_f32_dpp v75, v24, v75 row_newbcast:7 row_mask:0xf bank_mask:0xf// 00000000889C: 0A9696FA FF015718
	v_mul_f32_dpp v76, v24, v76 row_newbcast:4 row_mask:0xf bank_mask:0xf// 0000000088A4: 0A9898FA FF015418
	v_mul_f32_dpp v77, v24, v77 row_newbcast:5 row_mask:0xf bank_mask:0xf// 0000000088AC: 0A9A9AFA FF015518
	v_mul_f32_dpp v78, v24, v78 row_newbcast:6 row_mask:0xf bank_mask:0xf// 0000000088B4: 0A9C9CFA FF015618
	v_mul_f32_dpp v79, v24, v79 row_newbcast:7 row_mask:0xf bank_mask:0xf// 0000000088BC: 0A9E9EFA FF015718
	v_mul_f32_dpp v80, v24, v80 row_newbcast:4 row_mask:0xf bank_mask:0xf// 0000000088C4: 0AA0A0FA FF015418
	v_mul_f32_dpp v81, v24, v81 row_newbcast:5 row_mask:0xf bank_mask:0xf// 0000000088CC: 0AA2A2FA FF015518
	v_mul_f32_dpp v82, v24, v82 row_newbcast:6 row_mask:0xf bank_mask:0xf// 0000000088D4: 0AA4A4FA FF015618
	v_mul_f32_dpp v83, v24, v83 row_newbcast:7 row_mask:0xf bank_mask:0xf// 0000000088DC: 0AA6A6FA FF015718
	v_mul_f32_dpp v84, v24, v84 row_newbcast:4 row_mask:0xf bank_mask:0xf// 0000000088E4: 0AA8A8FA FF015418
	v_mul_f32_dpp v85, v24, v85 row_newbcast:5 row_mask:0xf bank_mask:0xf// 0000000088EC: 0AAAAAFA FF015518
	v_mul_f32_dpp v86, v24, v86 row_newbcast:6 row_mask:0xf bank_mask:0xf// 0000000088F4: 0AACACFA FF015618
	v_mul_f32_dpp v87, v24, v87 row_newbcast:7 row_mask:0xf bank_mask:0xf// 0000000088FC: 0AAEAEFA FF015718
	v_mul_f32_dpp v88, v24, v88 row_newbcast:8 row_mask:0xf bank_mask:0xf// 000000008904: 0AB0B0FA FF015818
	v_mul_f32_dpp v89, v24, v89 row_newbcast:9 row_mask:0xf bank_mask:0xf// 00000000890C: 0AB2B2FA FF015918
	v_mul_f32_dpp v90, v24, v90 row_newbcast:10 row_mask:0xf bank_mask:0xf// 000000008914: 0AB4B4FA FF015A18
	v_mul_f32_dpp v91, v24, v91 row_newbcast:11 row_mask:0xf bank_mask:0xf// 00000000891C: 0AB6B6FA FF015B18
	v_mul_f32_dpp v92, v24, v92 row_newbcast:8 row_mask:0xf bank_mask:0xf// 000000008924: 0AB8B8FA FF015818
	v_mul_f32_dpp v93, v24, v93 row_newbcast:9 row_mask:0xf bank_mask:0xf// 00000000892C: 0ABABAFA FF015918
	v_mul_f32_dpp v94, v24, v94 row_newbcast:10 row_mask:0xf bank_mask:0xf// 000000008934: 0ABCBCFA FF015A18
	v_mul_f32_dpp v95, v24, v95 row_newbcast:11 row_mask:0xf bank_mask:0xf// 00000000893C: 0ABEBEFA FF015B18
	v_mul_f32_dpp v96, v24, v96 row_newbcast:8 row_mask:0xf bank_mask:0xf// 000000008944: 0AC0C0FA FF015818
	v_mul_f32_dpp v97, v24, v97 row_newbcast:9 row_mask:0xf bank_mask:0xf// 00000000894C: 0AC2C2FA FF015918
	v_mul_f32_dpp v98, v24, v98 row_newbcast:10 row_mask:0xf bank_mask:0xf// 000000008954: 0AC4C4FA FF015A18
	v_mul_f32_dpp v99, v24, v99 row_newbcast:11 row_mask:0xf bank_mask:0xf// 00000000895C: 0AC6C6FA FF015B18
	v_mul_f32_dpp v100, v24, v100 row_newbcast:8 row_mask:0xf bank_mask:0xf// 000000008964: 0AC8C8FA FF015818
	v_mul_f32_dpp v101, v24, v101 row_newbcast:9 row_mask:0xf bank_mask:0xf// 00000000896C: 0ACACAFA FF015918
	v_mul_f32_dpp v102, v24, v102 row_newbcast:10 row_mask:0xf bank_mask:0xf// 000000008974: 0ACCCCFA FF015A18
	v_mul_f32_dpp v103, v24, v103 row_newbcast:11 row_mask:0xf bank_mask:0xf// 00000000897C: 0ACECEFA FF015B18
	v_mul_f32_dpp v104, v24, v104 row_newbcast:12 row_mask:0xf bank_mask:0xf// 000000008984: 0AD0D0FA FF015C18
	v_mul_f32_dpp v105, v24, v105 row_newbcast:13 row_mask:0xf bank_mask:0xf// 00000000898C: 0AD2D2FA FF015D18
	v_mul_f32_dpp v106, v24, v106 row_newbcast:14 row_mask:0xf bank_mask:0xf// 000000008994: 0AD4D4FA FF015E18
	v_mul_f32_dpp v107, v24, v107 row_newbcast:15 row_mask:0xf bank_mask:0xf// 00000000899C: 0AD6D6FA FF015F18
	v_mul_f32_dpp v108, v24, v108 row_newbcast:12 row_mask:0xf bank_mask:0xf// 0000000089A4: 0AD8D8FA FF015C18
	v_mul_f32_dpp v109, v24, v109 row_newbcast:13 row_mask:0xf bank_mask:0xf// 0000000089AC: 0ADADAFA FF015D18
	v_mul_f32_dpp v110, v24, v110 row_newbcast:14 row_mask:0xf bank_mask:0xf// 0000000089B4: 0ADCDCFA FF015E18
	v_mul_f32_dpp v111, v24, v111 row_newbcast:15 row_mask:0xf bank_mask:0xf// 0000000089BC: 0ADEDEFA FF015F18
	v_mul_f32_dpp v112, v24, v112 row_newbcast:12 row_mask:0xf bank_mask:0xf// 0000000089C4: 0AE0E0FA FF015C18
	v_mul_f32_dpp v113, v24, v113 row_newbcast:13 row_mask:0xf bank_mask:0xf// 0000000089CC: 0AE2E2FA FF015D18
	v_mul_f32_dpp v114, v24, v114 row_newbcast:14 row_mask:0xf bank_mask:0xf// 0000000089D4: 0AE4E4FA FF015E18
	v_mul_f32_dpp v115, v24, v115 row_newbcast:15 row_mask:0xf bank_mask:0xf// 0000000089DC: 0AE6E6FA FF015F18
	v_mul_f32_dpp v116, v24, v116 row_newbcast:12 row_mask:0xf bank_mask:0xf// 0000000089E4: 0AE8E8FA FF015C18
	v_mul_f32_dpp v117, v24, v117 row_newbcast:13 row_mask:0xf bank_mask:0xf// 0000000089EC: 0AEAEAFA FF015D18
	v_mul_f32_dpp v118, v24, v118 row_newbcast:14 row_mask:0xf bank_mask:0xf// 0000000089F4: 0AECECFA FF015E18
	v_mul_f32_dpp v119, v24, v119 row_newbcast:15 row_mask:0xf bank_mask:0xf// 0000000089FC: 0AEEEEFA FF015F18
	v_mul_f32_dpp v120, v26, v120 row_newbcast:0 row_mask:0xf bank_mask:0xf// 000000008A04: 0AF0F0FA FF01501A
	v_mul_f32_dpp v121, v26, v121 row_newbcast:1 row_mask:0xf bank_mask:0xf// 000000008A0C: 0AF2F2FA FF01511A
	v_mul_f32_dpp v122, v26, v122 row_newbcast:2 row_mask:0xf bank_mask:0xf// 000000008A14: 0AF4F4FA FF01521A
	v_mul_f32_dpp v123, v26, v123 row_newbcast:3 row_mask:0xf bank_mask:0xf// 000000008A1C: 0AF6F6FA FF01531A
	v_mul_f32_dpp v124, v26, v124 row_newbcast:0 row_mask:0xf bank_mask:0xf// 000000008A24: 0AF8F8FA FF01501A
	v_mul_f32_dpp v125, v26, v125 row_newbcast:1 row_mask:0xf bank_mask:0xf// 000000008A2C: 0AFAFAFA FF01511A
	v_mul_f32_dpp v126, v26, v126 row_newbcast:2 row_mask:0xf bank_mask:0xf// 000000008A34: 0AFCFCFA FF01521A
	v_mul_f32_dpp v127, v26, v127 row_newbcast:3 row_mask:0xf bank_mask:0xf// 000000008A3C: 0AFEFEFA FF01531A
	v_mul_f32_dpp v128, v26, v128 row_newbcast:0 row_mask:0xf bank_mask:0xf// 000000008A44: 0B0100FA FF01501A
	v_mul_f32_dpp v129, v26, v129 row_newbcast:1 row_mask:0xf bank_mask:0xf// 000000008A4C: 0B0302FA FF01511A
	v_mul_f32_dpp v130, v26, v130 row_newbcast:2 row_mask:0xf bank_mask:0xf// 000000008A54: 0B0504FA FF01521A
	v_mul_f32_dpp v131, v26, v131 row_newbcast:3 row_mask:0xf bank_mask:0xf// 000000008A5C: 0B0706FA FF01531A
	v_mul_f32_dpp v132, v26, v132 row_newbcast:0 row_mask:0xf bank_mask:0xf// 000000008A64: 0B0908FA FF01501A
	v_mul_f32_dpp v133, v26, v133 row_newbcast:1 row_mask:0xf bank_mask:0xf// 000000008A6C: 0B0B0AFA FF01511A
	v_mul_f32_dpp v134, v26, v134 row_newbcast:2 row_mask:0xf bank_mask:0xf// 000000008A74: 0B0D0CFA FF01521A
	v_mul_f32_dpp v135, v26, v135 row_newbcast:3 row_mask:0xf bank_mask:0xf// 000000008A7C: 0B0F0EFA FF01531A
	v_mul_f32_dpp v136, v26, v136 row_newbcast:4 row_mask:0xf bank_mask:0xf// 000000008A84: 0B1110FA FF01541A
	v_mul_f32_dpp v137, v26, v137 row_newbcast:5 row_mask:0xf bank_mask:0xf// 000000008A8C: 0B1312FA FF01551A
	v_mul_f32_dpp v138, v26, v138 row_newbcast:6 row_mask:0xf bank_mask:0xf// 000000008A94: 0B1514FA FF01561A
	v_mul_f32_dpp v139, v26, v139 row_newbcast:7 row_mask:0xf bank_mask:0xf// 000000008A9C: 0B1716FA FF01571A
	v_mul_f32_dpp v140, v26, v140 row_newbcast:4 row_mask:0xf bank_mask:0xf// 000000008AA4: 0B1918FA FF01541A
	v_mul_f32_dpp v141, v26, v141 row_newbcast:5 row_mask:0xf bank_mask:0xf// 000000008AAC: 0B1B1AFA FF01551A
	v_mul_f32_dpp v142, v26, v142 row_newbcast:6 row_mask:0xf bank_mask:0xf// 000000008AB4: 0B1D1CFA FF01561A
	v_mul_f32_dpp v143, v26, v143 row_newbcast:7 row_mask:0xf bank_mask:0xf// 000000008ABC: 0B1F1EFA FF01571A
	v_mul_f32_dpp v144, v26, v144 row_newbcast:4 row_mask:0xf bank_mask:0xf// 000000008AC4: 0B2120FA FF01541A
	v_mul_f32_dpp v145, v26, v145 row_newbcast:5 row_mask:0xf bank_mask:0xf// 000000008ACC: 0B2322FA FF01551A
	v_mul_f32_dpp v146, v26, v146 row_newbcast:6 row_mask:0xf bank_mask:0xf// 000000008AD4: 0B2524FA FF01561A
	v_mul_f32_dpp v147, v26, v147 row_newbcast:7 row_mask:0xf bank_mask:0xf// 000000008ADC: 0B2726FA FF01571A
	v_mul_f32_dpp v148, v26, v148 row_newbcast:4 row_mask:0xf bank_mask:0xf// 000000008AE4: 0B2928FA FF01541A
	v_mul_f32_dpp v149, v26, v149 row_newbcast:5 row_mask:0xf bank_mask:0xf// 000000008AEC: 0B2B2AFA FF01551A
	v_mul_f32_dpp v150, v26, v150 row_newbcast:6 row_mask:0xf bank_mask:0xf// 000000008AF4: 0B2D2CFA FF01561A
	v_mul_f32_dpp v151, v26, v151 row_newbcast:7 row_mask:0xf bank_mask:0xf// 000000008AFC: 0B2F2EFA FF01571A
	v_mul_f32_dpp v152, v26, v152 row_newbcast:8 row_mask:0xf bank_mask:0xf// 000000008B04: 0B3130FA FF01581A
	v_mul_f32_dpp v153, v26, v153 row_newbcast:9 row_mask:0xf bank_mask:0xf// 000000008B0C: 0B3332FA FF01591A
	v_mul_f32_dpp v154, v26, v154 row_newbcast:10 row_mask:0xf bank_mask:0xf// 000000008B14: 0B3534FA FF015A1A
	v_mul_f32_dpp v155, v26, v155 row_newbcast:11 row_mask:0xf bank_mask:0xf// 000000008B1C: 0B3736FA FF015B1A
	v_mul_f32_dpp v156, v26, v156 row_newbcast:8 row_mask:0xf bank_mask:0xf// 000000008B24: 0B3938FA FF01581A
	v_mul_f32_dpp v157, v26, v157 row_newbcast:9 row_mask:0xf bank_mask:0xf// 000000008B2C: 0B3B3AFA FF01591A
	v_mul_f32_dpp v158, v26, v158 row_newbcast:10 row_mask:0xf bank_mask:0xf// 000000008B34: 0B3D3CFA FF015A1A
	v_mul_f32_dpp v159, v26, v159 row_newbcast:11 row_mask:0xf bank_mask:0xf// 000000008B3C: 0B3F3EFA FF015B1A
	v_mul_f32_dpp v160, v26, v160 row_newbcast:8 row_mask:0xf bank_mask:0xf// 000000008B44: 0B4140FA FF01581A
	v_mul_f32_dpp v161, v26, v161 row_newbcast:9 row_mask:0xf bank_mask:0xf// 000000008B4C: 0B4342FA FF01591A
	v_mul_f32_dpp v162, v26, v162 row_newbcast:10 row_mask:0xf bank_mask:0xf// 000000008B54: 0B4544FA FF015A1A
	v_mul_f32_dpp v163, v26, v163 row_newbcast:11 row_mask:0xf bank_mask:0xf// 000000008B5C: 0B4746FA FF015B1A
	v_mul_f32_dpp v164, v26, v164 row_newbcast:8 row_mask:0xf bank_mask:0xf// 000000008B64: 0B4948FA FF01581A
	v_mul_f32_dpp v165, v26, v165 row_newbcast:9 row_mask:0xf bank_mask:0xf// 000000008B6C: 0B4B4AFA FF01591A
	v_mul_f32_dpp v166, v26, v166 row_newbcast:10 row_mask:0xf bank_mask:0xf// 000000008B74: 0B4D4CFA FF015A1A
	v_mul_f32_dpp v167, v26, v167 row_newbcast:11 row_mask:0xf bank_mask:0xf// 000000008B7C: 0B4F4EFA FF015B1A
	v_mul_f32_dpp v168, v26, v168 row_newbcast:12 row_mask:0xf bank_mask:0xf// 000000008B84: 0B5150FA FF015C1A
	v_mul_f32_dpp v169, v26, v169 row_newbcast:13 row_mask:0xf bank_mask:0xf// 000000008B8C: 0B5352FA FF015D1A
	v_mul_f32_dpp v170, v26, v170 row_newbcast:14 row_mask:0xf bank_mask:0xf// 000000008B94: 0B5554FA FF015E1A
	v_mul_f32_dpp v171, v26, v171 row_newbcast:15 row_mask:0xf bank_mask:0xf// 000000008B9C: 0B5756FA FF015F1A
	v_mul_f32_dpp v172, v26, v172 row_newbcast:12 row_mask:0xf bank_mask:0xf// 000000008BA4: 0B5958FA FF015C1A
	v_mul_f32_dpp v173, v26, v173 row_newbcast:13 row_mask:0xf bank_mask:0xf// 000000008BAC: 0B5B5AFA FF015D1A
	v_mul_f32_dpp v174, v26, v174 row_newbcast:14 row_mask:0xf bank_mask:0xf// 000000008BB4: 0B5D5CFA FF015E1A
	v_mul_f32_dpp v175, v26, v175 row_newbcast:15 row_mask:0xf bank_mask:0xf// 000000008BBC: 0B5F5EFA FF015F1A
	v_mul_f32_dpp v176, v26, v176 row_newbcast:12 row_mask:0xf bank_mask:0xf// 000000008BC4: 0B6160FA FF015C1A
	v_mul_f32_dpp v177, v26, v177 row_newbcast:13 row_mask:0xf bank_mask:0xf// 000000008BCC: 0B6362FA FF015D1A
	v_mul_f32_dpp v178, v26, v178 row_newbcast:14 row_mask:0xf bank_mask:0xf// 000000008BD4: 0B6564FA FF015E1A
	v_mul_f32_dpp v179, v26, v179 row_newbcast:15 row_mask:0xf bank_mask:0xf// 000000008BDC: 0B6766FA FF015F1A
	v_mul_f32_dpp v180, v26, v180 row_newbcast:12 row_mask:0xf bank_mask:0xf// 000000008BE4: 0B6968FA FF015C1A
	v_mul_f32_dpp v181, v26, v181 row_newbcast:13 row_mask:0xf bank_mask:0xf// 000000008BEC: 0B6B6AFA FF015D1A
	v_mul_f32_dpp v182, v26, v182 row_newbcast:14 row_mask:0xf bank_mask:0xf// 000000008BF4: 0B6D6CFA FF015E1A
	v_mul_f32_dpp v183, v26, v183 row_newbcast:15 row_mask:0xf bank_mask:0xf// 000000008BFC: 0B6F6EFA FF015F1A
	v_mul_f32_e32 v32, v32, v184                               // 000000008C04: 0A417120
	v_mov_b32_e32 v4, v32                                      // 000000008C08: 7E080320
	v_mov_b32_e32 v5, v4                                       // 000000008C0C: 7E0A0304
	v_pk_mul_f32 v[56:57], v[4:5], v[56:57]                    // 000000008C10: D3B14038 18027104
	v_pk_mul_f32 v[120:121], v[4:5], v[120:121]                // 000000008C18: D3B14078 1802F104
	v_pk_mul_f32 v[58:59], v[4:5], v[58:59]                    // 000000008C20: D3B1403A 18027504
	v_pk_mul_f32 v[122:123], v[4:5], v[122:123]                // 000000008C28: D3B1407A 1802F504
	v_pk_mul_f32 v[72:73], v[4:5], v[72:73]                    // 000000008C30: D3B14048 18029104
	v_pk_mul_f32 v[136:137], v[4:5], v[136:137]                // 000000008C38: D3B14088 18031104
	v_pk_mul_f32 v[74:75], v[4:5], v[74:75]                    // 000000008C40: D3B1404A 18029504
	v_pk_mul_f32 v[138:139], v[4:5], v[138:139]                // 000000008C48: D3B1408A 18031504
	v_pk_mul_f32 v[88:89], v[4:5], v[88:89]                    // 000000008C50: D3B14058 1802B104
	v_pk_mul_f32 v[152:153], v[4:5], v[152:153]                // 000000008C58: D3B14098 18033104
	v_pk_mul_f32 v[90:91], v[4:5], v[90:91]                    // 000000008C60: D3B1405A 1802B504
	v_pk_mul_f32 v[154:155], v[4:5], v[154:155]                // 000000008C68: D3B1409A 18033504
	v_pk_mul_f32 v[104:105], v[4:5], v[104:105]                // 000000008C70: D3B14068 1802D104
	v_pk_mul_f32 v[168:169], v[4:5], v[168:169]                // 000000008C78: D3B140A8 18035104
	v_pk_mul_f32 v[106:107], v[4:5], v[106:107]                // 000000008C80: D3B1406A 1802D504
	v_pk_mul_f32 v[170:171], v[4:5], v[170:171]                // 000000008C88: D3B140AA 18035504
	v_mul_f32_e32 v33, v33, v185                               // 000000008C90: 0A437321
	v_mov_b32_e32 v4, v33                                      // 000000008C94: 7E080321
	v_mov_b32_e32 v5, v4                                       // 000000008C98: 7E0A0304
	v_pk_mul_f32 v[60:61], v[4:5], v[60:61]                    // 000000008C9C: D3B1403C 18027904
	v_pk_mul_f32 v[124:125], v[4:5], v[124:125]                // 000000008CA4: D3B1407C 1802F904
	v_pk_mul_f32 v[62:63], v[4:5], v[62:63]                    // 000000008CAC: D3B1403E 18027D04
	v_pk_mul_f32 v[126:127], v[4:5], v[126:127]                // 000000008CB4: D3B1407E 1802FD04
	v_pk_mul_f32 v[76:77], v[4:5], v[76:77]                    // 000000008CBC: D3B1404C 18029904
	v_pk_mul_f32 v[140:141], v[4:5], v[140:141]                // 000000008CC4: D3B1408C 18031904
	v_pk_mul_f32 v[78:79], v[4:5], v[78:79]                    // 000000008CCC: D3B1404E 18029D04
	v_pk_mul_f32 v[142:143], v[4:5], v[142:143]                // 000000008CD4: D3B1408E 18031D04
	v_pk_mul_f32 v[92:93], v[4:5], v[92:93]                    // 000000008CDC: D3B1405C 1802B904
	v_pk_mul_f32 v[156:157], v[4:5], v[156:157]                // 000000008CE4: D3B1409C 18033904
	v_pk_mul_f32 v[94:95], v[4:5], v[94:95]                    // 000000008CEC: D3B1405E 1802BD04
	v_pk_mul_f32 v[158:159], v[4:5], v[158:159]                // 000000008CF4: D3B1409E 18033D04
	v_pk_mul_f32 v[108:109], v[4:5], v[108:109]                // 000000008CFC: D3B1406C 1802D904
	v_pk_mul_f32 v[172:173], v[4:5], v[172:173]                // 000000008D04: D3B140AC 18035904
	v_pk_mul_f32 v[110:111], v[4:5], v[110:111]                // 000000008D0C: D3B1406E 1802DD04
	v_pk_mul_f32 v[174:175], v[4:5], v[174:175]                // 000000008D14: D3B140AE 18035D04
	v_mul_f32_e32 v34, v34, v186                               // 000000008D1C: 0A457522
	v_mov_b32_e32 v4, v34                                      // 000000008D20: 7E080322
	v_mov_b32_e32 v5, v4                                       // 000000008D24: 7E0A0304
	v_pk_mul_f32 v[64:65], v[4:5], v[64:65]                    // 000000008D28: D3B14040 18028104
	v_pk_mul_f32 v[128:129], v[4:5], v[128:129]                // 000000008D30: D3B14080 18030104
	v_pk_mul_f32 v[66:67], v[4:5], v[66:67]                    // 000000008D38: D3B14042 18028504
	v_pk_mul_f32 v[130:131], v[4:5], v[130:131]                // 000000008D40: D3B14082 18030504
	v_pk_mul_f32 v[80:81], v[4:5], v[80:81]                    // 000000008D48: D3B14050 1802A104
	v_pk_mul_f32 v[144:145], v[4:5], v[144:145]                // 000000008D50: D3B14090 18032104
	v_pk_mul_f32 v[82:83], v[4:5], v[82:83]                    // 000000008D58: D3B14052 1802A504
	v_pk_mul_f32 v[146:147], v[4:5], v[146:147]                // 000000008D60: D3B14092 18032504
	v_pk_mul_f32 v[96:97], v[4:5], v[96:97]                    // 000000008D68: D3B14060 1802C104
	v_pk_mul_f32 v[160:161], v[4:5], v[160:161]                // 000000008D70: D3B140A0 18034104
	v_pk_mul_f32 v[98:99], v[4:5], v[98:99]                    // 000000008D78: D3B14062 1802C504
	v_pk_mul_f32 v[162:163], v[4:5], v[162:163]                // 000000008D80: D3B140A2 18034504
	v_pk_mul_f32 v[112:113], v[4:5], v[112:113]                // 000000008D88: D3B14070 1802E104
	v_pk_mul_f32 v[176:177], v[4:5], v[176:177]                // 000000008D90: D3B140B0 18036104
	v_pk_mul_f32 v[114:115], v[4:5], v[114:115]                // 000000008D98: D3B14072 1802E504
	v_pk_mul_f32 v[178:179], v[4:5], v[178:179]                // 000000008DA0: D3B140B2 18036504
	v_mul_f32_e32 v35, v35, v187                               // 000000008DA8: 0A477723
	v_mov_b32_e32 v4, v35                                      // 000000008DAC: 7E080323
	v_mov_b32_e32 v5, v4                                       // 000000008DB0: 7E0A0304
	v_pk_mul_f32 v[68:69], v[4:5], v[68:69]                    // 000000008DB4: D3B14044 18028904
	v_pk_mul_f32 v[132:133], v[4:5], v[132:133]                // 000000008DBC: D3B14084 18030904
	v_pk_mul_f32 v[70:71], v[4:5], v[70:71]                    // 000000008DC4: D3B14046 18028D04
	v_pk_mul_f32 v[134:135], v[4:5], v[134:135]                // 000000008DCC: D3B14086 18030D04
	v_pk_mul_f32 v[84:85], v[4:5], v[84:85]                    // 000000008DD4: D3B14054 1802A904
	v_pk_mul_f32 v[148:149], v[4:5], v[148:149]                // 000000008DDC: D3B14094 18032904
	v_pk_mul_f32 v[86:87], v[4:5], v[86:87]                    // 000000008DE4: D3B14056 1802AD04
	v_pk_mul_f32 v[150:151], v[4:5], v[150:151]                // 000000008DEC: D3B14096 18032D04
	v_pk_mul_f32 v[100:101], v[4:5], v[100:101]                // 000000008DF4: D3B14064 1802C904
	v_pk_mul_f32 v[164:165], v[4:5], v[164:165]                // 000000008DFC: D3B140A4 18034904
	v_pk_mul_f32 v[102:103], v[4:5], v[102:103]                // 000000008E04: D3B14066 1802CD04
	v_pk_mul_f32 v[166:167], v[4:5], v[166:167]                // 000000008E0C: D3B140A6 18034D04
	v_pk_mul_f32 v[116:117], v[4:5], v[116:117]                // 000000008E14: D3B14074 1802E904
	v_pk_mul_f32 v[180:181], v[4:5], v[180:181]                // 000000008E1C: D3B140B4 18036904
	v_pk_mul_f32 v[118:119], v[4:5], v[118:119]                // 000000008E24: D3B14076 1802ED04
	v_pk_mul_f32 v[182:183], v[4:5], v[182:183]                // 000000008E2C: D3B140B6 18036D04
	s_cmp_eq_u32 s88, 0                                        // 000000008E34: BF068058
	s_cbranch_scc0 label_2143                                  // 000000008E38: BF840831
	s_cmp_eq_u32 s89, 0                                        // 000000008E3C: BF068059
	s_cbranch_scc1 label_1B99                                  // 000000008E40: BF850285
	v_mov_b32_e32 v8, v1                                       // 000000008E44: 7E100301
	v_mov_b32_e32 v9, v1                                       // 000000008E48: 7E120301
	s_mov_b32 s60, s6                                          // 000000008E4C: BEBC0006
	s_mov_b32 s61, s6                                          // 000000008E50: BEBD0006
	v_pk_mul_f32 v[4:5], v[56:57], v[56:57]                    // 000000008E54: D3B14004 18027138
	v_pk_mul_f32 v[6:7], v[58:59], v[58:59]                    // 000000008E5C: D3B14006 1802753A
	v_pk_fma_f32 v[4:5], v[4:5], s[78:79], v[8:9]              // 000000008E64: D3B04004 1C209D04
	v_pk_fma_f32 v[6:7], v[6:7], s[78:79], v[8:9]              // 000000008E6C: D3B04006 1C209D06
	v_pk_mul_f32 v[4:5], v[4:5], v[56:57]                      // 000000008E74: D3B14004 18027104
	v_pk_mul_f32 v[6:7], v[6:7], v[58:59]                      // 000000008E7C: D3B14006 18027506
	v_pk_mul_f32 v[4:5], v[4:5], s[60:61]                      // 000000008E84: D3B14004 18007904
	v_pk_mul_f32 v[6:7], v[6:7], s[60:61]                      // 000000008E8C: D3B14006 18007906
	v_exp_f32_e32 v4, v4                                       // 000000008E94: 7E084104
	v_exp_f32_e32 v5, v5                                       // 000000008E98: 7E0A4105
	v_exp_f32_e32 v6, v6                                       // 000000008E9C: 7E0C4106
	v_exp_f32_e32 v7, v7                                       // 000000008EA0: 7E0E4107
	v_add_f32_e64 v4, v4, 1.0                                  // 000000008EA4: D1010004 0001E504
	v_add_f32_e64 v5, v5, 1.0                                  // 000000008EAC: D1010005 0001E505
	v_add_f32_e64 v6, v6, 1.0                                  // 000000008EB4: D1010006 0001E506
	v_add_f32_e64 v7, v7, 1.0                                  // 000000008EBC: D1010007 0001E507
	v_rcp_f32_e32 v4, v4                                       // 000000008EC4: 7E084504
	v_rcp_f32_e32 v5, v5                                       // 000000008EC8: 7E0A4505
	v_rcp_f32_e32 v6, v6                                       // 000000008ECC: 7E0C4506
	v_rcp_f32_e32 v7, v7                                       // 000000008ED0: 7E0E4507
	v_mul_f32_e32 v56, v56, v4                                 // 000000008ED4: 0A700938
	v_mul_f32_e32 v57, v57, v5                                 // 000000008ED8: 0A720B39
	v_mul_f32_e32 v58, v58, v6                                 // 000000008EDC: 0A740D3A
	v_mul_f32_e32 v59, v59, v7                                 // 000000008EE0: 0A760F3B
	v_mul_f32_e32 v56, v56, v120                               // 000000008EE4: 0A70F138
	v_mul_f32_e32 v57, v57, v121                               // 000000008EE8: 0A72F339
	v_mul_f32_e32 v58, v58, v122                               // 000000008EEC: 0A74F53A
	v_mul_f32_e32 v59, v59, v123                               // 000000008EF0: 0A76F73B
	v_pk_mul_f32 v[4:5], v[60:61], v[60:61]                    // 000000008EF4: D3B14004 1802793C
	v_pk_mul_f32 v[6:7], v[62:63], v[62:63]                    // 000000008EFC: D3B14006 18027D3E
	v_pk_fma_f32 v[4:5], v[4:5], s[78:79], v[8:9]              // 000000008F04: D3B04004 1C209D04
	v_pk_fma_f32 v[6:7], v[6:7], s[78:79], v[8:9]              // 000000008F0C: D3B04006 1C209D06
	v_pk_mul_f32 v[4:5], v[4:5], v[60:61]                      // 000000008F14: D3B14004 18027904
	v_pk_mul_f32 v[6:7], v[6:7], v[62:63]                      // 000000008F1C: D3B14006 18027D06
	v_pk_mul_f32 v[4:5], v[4:5], s[60:61]                      // 000000008F24: D3B14004 18007904
	v_pk_mul_f32 v[6:7], v[6:7], s[60:61]                      // 000000008F2C: D3B14006 18007906
	v_exp_f32_e32 v4, v4                                       // 000000008F34: 7E084104
	v_exp_f32_e32 v5, v5                                       // 000000008F38: 7E0A4105
	v_exp_f32_e32 v6, v6                                       // 000000008F3C: 7E0C4106
	v_exp_f32_e32 v7, v7                                       // 000000008F40: 7E0E4107
	v_add_f32_e64 v4, v4, 1.0                                  // 000000008F44: D1010004 0001E504
	v_add_f32_e64 v5, v5, 1.0                                  // 000000008F4C: D1010005 0001E505
	v_add_f32_e64 v6, v6, 1.0                                  // 000000008F54: D1010006 0001E506
	v_add_f32_e64 v7, v7, 1.0                                  // 000000008F5C: D1010007 0001E507
	v_rcp_f32_e32 v4, v4                                       // 000000008F64: 7E084504
	v_rcp_f32_e32 v5, v5                                       // 000000008F68: 7E0A4505
	v_rcp_f32_e32 v6, v6                                       // 000000008F6C: 7E0C4506
	v_rcp_f32_e32 v7, v7                                       // 000000008F70: 7E0E4507
	v_mul_f32_e32 v60, v60, v4                                 // 000000008F74: 0A78093C
	v_mul_f32_e32 v61, v61, v5                                 // 000000008F78: 0A7A0B3D
	v_mul_f32_e32 v62, v62, v6                                 // 000000008F7C: 0A7C0D3E
	v_mul_f32_e32 v63, v63, v7                                 // 000000008F80: 0A7E0F3F
	v_mul_f32_e32 v60, v60, v124                               // 000000008F84: 0A78F93C
	v_mul_f32_e32 v61, v61, v125                               // 000000008F88: 0A7AFB3D
	v_mul_f32_e32 v62, v62, v126                               // 000000008F8C: 0A7CFD3E
	v_mul_f32_e32 v63, v63, v127                               // 000000008F90: 0A7EFF3F
	v_pk_mul_f32 v[4:5], v[64:65], v[64:65]                    // 000000008F94: D3B14004 18028140
	v_pk_mul_f32 v[6:7], v[66:67], v[66:67]                    // 000000008F9C: D3B14006 18028542
	v_pk_fma_f32 v[4:5], v[4:5], s[78:79], v[8:9]              // 000000008FA4: D3B04004 1C209D04
	v_pk_fma_f32 v[6:7], v[6:7], s[78:79], v[8:9]              // 000000008FAC: D3B04006 1C209D06
	v_pk_mul_f32 v[4:5], v[4:5], v[64:65]                      // 000000008FB4: D3B14004 18028104
	v_pk_mul_f32 v[6:7], v[6:7], v[66:67]                      // 000000008FBC: D3B14006 18028506
	v_pk_mul_f32 v[4:5], v[4:5], s[60:61]                      // 000000008FC4: D3B14004 18007904
	v_pk_mul_f32 v[6:7], v[6:7], s[60:61]                      // 000000008FCC: D3B14006 18007906
	v_exp_f32_e32 v4, v4                                       // 000000008FD4: 7E084104
	v_exp_f32_e32 v5, v5                                       // 000000008FD8: 7E0A4105
	v_exp_f32_e32 v6, v6                                       // 000000008FDC: 7E0C4106
	v_exp_f32_e32 v7, v7                                       // 000000008FE0: 7E0E4107
	v_add_f32_e64 v4, v4, 1.0                                  // 000000008FE4: D1010004 0001E504
	v_add_f32_e64 v5, v5, 1.0                                  // 000000008FEC: D1010005 0001E505
	v_add_f32_e64 v6, v6, 1.0                                  // 000000008FF4: D1010006 0001E506
	v_add_f32_e64 v7, v7, 1.0                                  // 000000008FFC: D1010007 0001E507
	v_rcp_f32_e32 v4, v4                                       // 000000009004: 7E084504
	v_rcp_f32_e32 v5, v5                                       // 000000009008: 7E0A4505
	v_rcp_f32_e32 v6, v6                                       // 00000000900C: 7E0C4506
	v_rcp_f32_e32 v7, v7                                       // 000000009010: 7E0E4507
	v_mul_f32_e32 v64, v64, v4                                 // 000000009014: 0A800940
	v_mul_f32_e32 v65, v65, v5                                 // 000000009018: 0A820B41
	v_mul_f32_e32 v66, v66, v6                                 // 00000000901C: 0A840D42
	v_mul_f32_e32 v67, v67, v7                                 // 000000009020: 0A860F43
	v_mul_f32_e32 v64, v64, v128                               // 000000009024: 0A810140
	v_mul_f32_e32 v65, v65, v129                               // 000000009028: 0A830341
	v_mul_f32_e32 v66, v66, v130                               // 00000000902C: 0A850542
	v_mul_f32_e32 v67, v67, v131                               // 000000009030: 0A870743
	v_pk_mul_f32 v[4:5], v[68:69], v[68:69]                    // 000000009034: D3B14004 18028944
	v_pk_mul_f32 v[6:7], v[70:71], v[70:71]                    // 00000000903C: D3B14006 18028D46
	v_pk_fma_f32 v[4:5], v[4:5], s[78:79], v[8:9]              // 000000009044: D3B04004 1C209D04
	v_pk_fma_f32 v[6:7], v[6:7], s[78:79], v[8:9]              // 00000000904C: D3B04006 1C209D06
	v_pk_mul_f32 v[4:5], v[4:5], v[68:69]                      // 000000009054: D3B14004 18028904
	v_pk_mul_f32 v[6:7], v[6:7], v[70:71]                      // 00000000905C: D3B14006 18028D06
	v_pk_mul_f32 v[4:5], v[4:5], s[60:61]                      // 000000009064: D3B14004 18007904
	v_pk_mul_f32 v[6:7], v[6:7], s[60:61]                      // 00000000906C: D3B14006 18007906
	v_exp_f32_e32 v4, v4                                       // 000000009074: 7E084104
	v_exp_f32_e32 v5, v5                                       // 000000009078: 7E0A4105
	v_exp_f32_e32 v6, v6                                       // 00000000907C: 7E0C4106
	v_exp_f32_e32 v7, v7                                       // 000000009080: 7E0E4107
	v_add_f32_e64 v4, v4, 1.0                                  // 000000009084: D1010004 0001E504
	v_add_f32_e64 v5, v5, 1.0                                  // 00000000908C: D1010005 0001E505
	v_add_f32_e64 v6, v6, 1.0                                  // 000000009094: D1010006 0001E506
	v_add_f32_e64 v7, v7, 1.0                                  // 00000000909C: D1010007 0001E507
	v_rcp_f32_e32 v4, v4                                       // 0000000090A4: 7E084504
	v_rcp_f32_e32 v5, v5                                       // 0000000090A8: 7E0A4505
	v_rcp_f32_e32 v6, v6                                       // 0000000090AC: 7E0C4506
	v_rcp_f32_e32 v7, v7                                       // 0000000090B0: 7E0E4507
	v_mul_f32_e32 v68, v68, v4                                 // 0000000090B4: 0A880944
	v_mul_f32_e32 v69, v69, v5                                 // 0000000090B8: 0A8A0B45
	v_mul_f32_e32 v70, v70, v6                                 // 0000000090BC: 0A8C0D46
	v_mul_f32_e32 v71, v71, v7                                 // 0000000090C0: 0A8E0F47
	v_mul_f32_e32 v68, v68, v132                               // 0000000090C4: 0A890944
	v_mul_f32_e32 v69, v69, v133                               // 0000000090C8: 0A8B0B45
	v_mul_f32_e32 v70, v70, v134                               // 0000000090CC: 0A8D0D46
	v_mul_f32_e32 v71, v71, v135                               // 0000000090D0: 0A8F0F47
	v_pk_mul_f32 v[4:5], v[72:73], v[72:73]                    // 0000000090D4: D3B14004 18029148
	v_pk_mul_f32 v[6:7], v[74:75], v[74:75]                    // 0000000090DC: D3B14006 1802954A
	v_pk_fma_f32 v[4:5], v[4:5], s[78:79], v[8:9]              // 0000000090E4: D3B04004 1C209D04
	v_pk_fma_f32 v[6:7], v[6:7], s[78:79], v[8:9]              // 0000000090EC: D3B04006 1C209D06
	v_pk_mul_f32 v[4:5], v[4:5], v[72:73]                      // 0000000090F4: D3B14004 18029104
	v_pk_mul_f32 v[6:7], v[6:7], v[74:75]                      // 0000000090FC: D3B14006 18029506
	v_pk_mul_f32 v[4:5], v[4:5], s[60:61]                      // 000000009104: D3B14004 18007904
	v_pk_mul_f32 v[6:7], v[6:7], s[60:61]                      // 00000000910C: D3B14006 18007906
	v_exp_f32_e32 v4, v4                                       // 000000009114: 7E084104
	v_exp_f32_e32 v5, v5                                       // 000000009118: 7E0A4105
	v_exp_f32_e32 v6, v6                                       // 00000000911C: 7E0C4106
	v_exp_f32_e32 v7, v7                                       // 000000009120: 7E0E4107
	v_add_f32_e64 v4, v4, 1.0                                  // 000000009124: D1010004 0001E504
	v_add_f32_e64 v5, v5, 1.0                                  // 00000000912C: D1010005 0001E505
	v_add_f32_e64 v6, v6, 1.0                                  // 000000009134: D1010006 0001E506
	v_add_f32_e64 v7, v7, 1.0                                  // 00000000913C: D1010007 0001E507
	v_rcp_f32_e32 v4, v4                                       // 000000009144: 7E084504
	v_rcp_f32_e32 v5, v5                                       // 000000009148: 7E0A4505
	v_rcp_f32_e32 v6, v6                                       // 00000000914C: 7E0C4506
	v_rcp_f32_e32 v7, v7                                       // 000000009150: 7E0E4507
	v_mul_f32_e32 v72, v72, v4                                 // 000000009154: 0A900948
	v_mul_f32_e32 v73, v73, v5                                 // 000000009158: 0A920B49
	v_mul_f32_e32 v74, v74, v6                                 // 00000000915C: 0A940D4A
	v_mul_f32_e32 v75, v75, v7                                 // 000000009160: 0A960F4B
	v_mul_f32_e32 v72, v72, v136                               // 000000009164: 0A911148
	v_mul_f32_e32 v73, v73, v137                               // 000000009168: 0A931349
	v_mul_f32_e32 v74, v74, v138                               // 00000000916C: 0A95154A
	v_mul_f32_e32 v75, v75, v139                               // 000000009170: 0A97174B
	v_pk_mul_f32 v[4:5], v[76:77], v[76:77]                    // 000000009174: D3B14004 1802994C
	v_pk_mul_f32 v[6:7], v[78:79], v[78:79]                    // 00000000917C: D3B14006 18029D4E
	v_pk_fma_f32 v[4:5], v[4:5], s[78:79], v[8:9]              // 000000009184: D3B04004 1C209D04
	v_pk_fma_f32 v[6:7], v[6:7], s[78:79], v[8:9]              // 00000000918C: D3B04006 1C209D06
	v_pk_mul_f32 v[4:5], v[4:5], v[76:77]                      // 000000009194: D3B14004 18029904
	v_pk_mul_f32 v[6:7], v[6:7], v[78:79]                      // 00000000919C: D3B14006 18029D06
	v_pk_mul_f32 v[4:5], v[4:5], s[60:61]                      // 0000000091A4: D3B14004 18007904
	v_pk_mul_f32 v[6:7], v[6:7], s[60:61]                      // 0000000091AC: D3B14006 18007906
	v_exp_f32_e32 v4, v4                                       // 0000000091B4: 7E084104
	v_exp_f32_e32 v5, v5                                       // 0000000091B8: 7E0A4105
	v_exp_f32_e32 v6, v6                                       // 0000000091BC: 7E0C4106
	v_exp_f32_e32 v7, v7                                       // 0000000091C0: 7E0E4107
	v_add_f32_e64 v4, v4, 1.0                                  // 0000000091C4: D1010004 0001E504
	v_add_f32_e64 v5, v5, 1.0                                  // 0000000091CC: D1010005 0001E505
	v_add_f32_e64 v6, v6, 1.0                                  // 0000000091D4: D1010006 0001E506
	v_add_f32_e64 v7, v7, 1.0                                  // 0000000091DC: D1010007 0001E507
	v_rcp_f32_e32 v4, v4                                       // 0000000091E4: 7E084504
	v_rcp_f32_e32 v5, v5                                       // 0000000091E8: 7E0A4505
	v_rcp_f32_e32 v6, v6                                       // 0000000091EC: 7E0C4506
	v_rcp_f32_e32 v7, v7                                       // 0000000091F0: 7E0E4507
	v_mul_f32_e32 v76, v76, v4                                 // 0000000091F4: 0A98094C
	v_mul_f32_e32 v77, v77, v5                                 // 0000000091F8: 0A9A0B4D
	v_mul_f32_e32 v78, v78, v6                                 // 0000000091FC: 0A9C0D4E
	v_mul_f32_e32 v79, v79, v7                                 // 000000009200: 0A9E0F4F
	v_mul_f32_e32 v76, v76, v140                               // 000000009204: 0A99194C
	v_mul_f32_e32 v77, v77, v141                               // 000000009208: 0A9B1B4D
	v_mul_f32_e32 v78, v78, v142                               // 00000000920C: 0A9D1D4E
	v_mul_f32_e32 v79, v79, v143                               // 000000009210: 0A9F1F4F
	v_pk_mul_f32 v[4:5], v[80:81], v[80:81]                    // 000000009214: D3B14004 1802A150
	v_pk_mul_f32 v[6:7], v[82:83], v[82:83]                    // 00000000921C: D3B14006 1802A552
	v_pk_fma_f32 v[4:5], v[4:5], s[78:79], v[8:9]              // 000000009224: D3B04004 1C209D04
	v_pk_fma_f32 v[6:7], v[6:7], s[78:79], v[8:9]              // 00000000922C: D3B04006 1C209D06
	v_pk_mul_f32 v[4:5], v[4:5], v[80:81]                      // 000000009234: D3B14004 1802A104
	v_pk_mul_f32 v[6:7], v[6:7], v[82:83]                      // 00000000923C: D3B14006 1802A506
	v_pk_mul_f32 v[4:5], v[4:5], s[60:61]                      // 000000009244: D3B14004 18007904
	v_pk_mul_f32 v[6:7], v[6:7], s[60:61]                      // 00000000924C: D3B14006 18007906
	v_exp_f32_e32 v4, v4                                       // 000000009254: 7E084104
	v_exp_f32_e32 v5, v5                                       // 000000009258: 7E0A4105
	v_exp_f32_e32 v6, v6                                       // 00000000925C: 7E0C4106
	v_exp_f32_e32 v7, v7                                       // 000000009260: 7E0E4107
	v_add_f32_e64 v4, v4, 1.0                                  // 000000009264: D1010004 0001E504
	v_add_f32_e64 v5, v5, 1.0                                  // 00000000926C: D1010005 0001E505
	v_add_f32_e64 v6, v6, 1.0                                  // 000000009274: D1010006 0001E506
	v_add_f32_e64 v7, v7, 1.0                                  // 00000000927C: D1010007 0001E507
	v_rcp_f32_e32 v4, v4                                       // 000000009284: 7E084504
	v_rcp_f32_e32 v5, v5                                       // 000000009288: 7E0A4505
	v_rcp_f32_e32 v6, v6                                       // 00000000928C: 7E0C4506
	v_rcp_f32_e32 v7, v7                                       // 000000009290: 7E0E4507
	v_mul_f32_e32 v80, v80, v4                                 // 000000009294: 0AA00950
	v_mul_f32_e32 v81, v81, v5                                 // 000000009298: 0AA20B51
	v_mul_f32_e32 v82, v82, v6                                 // 00000000929C: 0AA40D52
	v_mul_f32_e32 v83, v83, v7                                 // 0000000092A0: 0AA60F53
	v_mul_f32_e32 v80, v80, v144                               // 0000000092A4: 0AA12150
	v_mul_f32_e32 v81, v81, v145                               // 0000000092A8: 0AA32351
	v_mul_f32_e32 v82, v82, v146                               // 0000000092AC: 0AA52552
	v_mul_f32_e32 v83, v83, v147                               // 0000000092B0: 0AA72753
	v_pk_mul_f32 v[4:5], v[84:85], v[84:85]                    // 0000000092B4: D3B14004 1802A954
	v_pk_mul_f32 v[6:7], v[86:87], v[86:87]                    // 0000000092BC: D3B14006 1802AD56
	v_pk_fma_f32 v[4:5], v[4:5], s[78:79], v[8:9]              // 0000000092C4: D3B04004 1C209D04
	v_pk_fma_f32 v[6:7], v[6:7], s[78:79], v[8:9]              // 0000000092CC: D3B04006 1C209D06
	v_pk_mul_f32 v[4:5], v[4:5], v[84:85]                      // 0000000092D4: D3B14004 1802A904
	v_pk_mul_f32 v[6:7], v[6:7], v[86:87]                      // 0000000092DC: D3B14006 1802AD06
	v_pk_mul_f32 v[4:5], v[4:5], s[60:61]                      // 0000000092E4: D3B14004 18007904
	v_pk_mul_f32 v[6:7], v[6:7], s[60:61]                      // 0000000092EC: D3B14006 18007906
	v_exp_f32_e32 v4, v4                                       // 0000000092F4: 7E084104
	v_exp_f32_e32 v5, v5                                       // 0000000092F8: 7E0A4105
	v_exp_f32_e32 v6, v6                                       // 0000000092FC: 7E0C4106
	v_exp_f32_e32 v7, v7                                       // 000000009300: 7E0E4107
	v_add_f32_e64 v4, v4, 1.0                                  // 000000009304: D1010004 0001E504
	v_add_f32_e64 v5, v5, 1.0                                  // 00000000930C: D1010005 0001E505
	v_add_f32_e64 v6, v6, 1.0                                  // 000000009314: D1010006 0001E506
	v_add_f32_e64 v7, v7, 1.0                                  // 00000000931C: D1010007 0001E507
	v_rcp_f32_e32 v4, v4                                       // 000000009324: 7E084504
	v_rcp_f32_e32 v5, v5                                       // 000000009328: 7E0A4505
	v_rcp_f32_e32 v6, v6                                       // 00000000932C: 7E0C4506
	v_rcp_f32_e32 v7, v7                                       // 000000009330: 7E0E4507
	v_mul_f32_e32 v84, v84, v4                                 // 000000009334: 0AA80954
	v_mul_f32_e32 v85, v85, v5                                 // 000000009338: 0AAA0B55
	v_mul_f32_e32 v86, v86, v6                                 // 00000000933C: 0AAC0D56
	v_mul_f32_e32 v87, v87, v7                                 // 000000009340: 0AAE0F57
	v_mul_f32_e32 v84, v84, v148                               // 000000009344: 0AA92954
	v_mul_f32_e32 v85, v85, v149                               // 000000009348: 0AAB2B55
	v_mul_f32_e32 v86, v86, v150                               // 00000000934C: 0AAD2D56
	v_mul_f32_e32 v87, v87, v151                               // 000000009350: 0AAF2F57
	v_pk_mul_f32 v[4:5], v[88:89], v[88:89]                    // 000000009354: D3B14004 1802B158
	v_pk_mul_f32 v[6:7], v[90:91], v[90:91]                    // 00000000935C: D3B14006 1802B55A
	v_pk_fma_f32 v[4:5], v[4:5], s[78:79], v[8:9]              // 000000009364: D3B04004 1C209D04
	v_pk_fma_f32 v[6:7], v[6:7], s[78:79], v[8:9]              // 00000000936C: D3B04006 1C209D06
	v_pk_mul_f32 v[4:5], v[4:5], v[88:89]                      // 000000009374: D3B14004 1802B104
	v_pk_mul_f32 v[6:7], v[6:7], v[90:91]                      // 00000000937C: D3B14006 1802B506
	v_pk_mul_f32 v[4:5], v[4:5], s[60:61]                      // 000000009384: D3B14004 18007904
	v_pk_mul_f32 v[6:7], v[6:7], s[60:61]                      // 00000000938C: D3B14006 18007906
	v_exp_f32_e32 v4, v4                                       // 000000009394: 7E084104
	v_exp_f32_e32 v5, v5                                       // 000000009398: 7E0A4105
	v_exp_f32_e32 v6, v6                                       // 00000000939C: 7E0C4106
	v_exp_f32_e32 v7, v7                                       // 0000000093A0: 7E0E4107
	v_add_f32_e64 v4, v4, 1.0                                  // 0000000093A4: D1010004 0001E504
	v_add_f32_e64 v5, v5, 1.0                                  // 0000000093AC: D1010005 0001E505
	v_add_f32_e64 v6, v6, 1.0                                  // 0000000093B4: D1010006 0001E506
	v_add_f32_e64 v7, v7, 1.0                                  // 0000000093BC: D1010007 0001E507
	v_rcp_f32_e32 v4, v4                                       // 0000000093C4: 7E084504
	v_rcp_f32_e32 v5, v5                                       // 0000000093C8: 7E0A4505
	v_rcp_f32_e32 v6, v6                                       // 0000000093CC: 7E0C4506
	v_rcp_f32_e32 v7, v7                                       // 0000000093D0: 7E0E4507
	v_mul_f32_e32 v88, v88, v4                                 // 0000000093D4: 0AB00958
	v_mul_f32_e32 v89, v89, v5                                 // 0000000093D8: 0AB20B59
	v_mul_f32_e32 v90, v90, v6                                 // 0000000093DC: 0AB40D5A
	v_mul_f32_e32 v91, v91, v7                                 // 0000000093E0: 0AB60F5B
	v_mul_f32_e32 v88, v88, v152                               // 0000000093E4: 0AB13158
	v_mul_f32_e32 v89, v89, v153                               // 0000000093E8: 0AB33359
	v_mul_f32_e32 v90, v90, v154                               // 0000000093EC: 0AB5355A
	v_mul_f32_e32 v91, v91, v155                               // 0000000093F0: 0AB7375B
	v_pk_mul_f32 v[4:5], v[92:93], v[92:93]                    // 0000000093F4: D3B14004 1802B95C
	v_pk_mul_f32 v[6:7], v[94:95], v[94:95]                    // 0000000093FC: D3B14006 1802BD5E
	v_pk_fma_f32 v[4:5], v[4:5], s[78:79], v[8:9]              // 000000009404: D3B04004 1C209D04
	v_pk_fma_f32 v[6:7], v[6:7], s[78:79], v[8:9]              // 00000000940C: D3B04006 1C209D06
	v_pk_mul_f32 v[4:5], v[4:5], v[92:93]                      // 000000009414: D3B14004 1802B904
	v_pk_mul_f32 v[6:7], v[6:7], v[94:95]                      // 00000000941C: D3B14006 1802BD06
	v_pk_mul_f32 v[4:5], v[4:5], s[60:61]                      // 000000009424: D3B14004 18007904
	v_pk_mul_f32 v[6:7], v[6:7], s[60:61]                      // 00000000942C: D3B14006 18007906
	v_exp_f32_e32 v4, v4                                       // 000000009434: 7E084104
	v_exp_f32_e32 v5, v5                                       // 000000009438: 7E0A4105
	v_exp_f32_e32 v6, v6                                       // 00000000943C: 7E0C4106
	v_exp_f32_e32 v7, v7                                       // 000000009440: 7E0E4107
	v_add_f32_e64 v4, v4, 1.0                                  // 000000009444: D1010004 0001E504
	v_add_f32_e64 v5, v5, 1.0                                  // 00000000944C: D1010005 0001E505
	v_add_f32_e64 v6, v6, 1.0                                  // 000000009454: D1010006 0001E506
	v_add_f32_e64 v7, v7, 1.0                                  // 00000000945C: D1010007 0001E507
	v_rcp_f32_e32 v4, v4                                       // 000000009464: 7E084504
	v_rcp_f32_e32 v5, v5                                       // 000000009468: 7E0A4505
	v_rcp_f32_e32 v6, v6                                       // 00000000946C: 7E0C4506
	v_rcp_f32_e32 v7, v7                                       // 000000009470: 7E0E4507
	v_mul_f32_e32 v92, v92, v4                                 // 000000009474: 0AB8095C
	v_mul_f32_e32 v93, v93, v5                                 // 000000009478: 0ABA0B5D
	v_mul_f32_e32 v94, v94, v6                                 // 00000000947C: 0ABC0D5E
	v_mul_f32_e32 v95, v95, v7                                 // 000000009480: 0ABE0F5F
	v_mul_f32_e32 v92, v92, v156                               // 000000009484: 0AB9395C
	v_mul_f32_e32 v93, v93, v157                               // 000000009488: 0ABB3B5D
	v_mul_f32_e32 v94, v94, v158                               // 00000000948C: 0ABD3D5E
	v_mul_f32_e32 v95, v95, v159                               // 000000009490: 0ABF3F5F
	v_pk_mul_f32 v[4:5], v[96:97], v[96:97]                    // 000000009494: D3B14004 1802C160
	v_pk_mul_f32 v[6:7], v[98:99], v[98:99]                    // 00000000949C: D3B14006 1802C562
	v_pk_fma_f32 v[4:5], v[4:5], s[78:79], v[8:9]              // 0000000094A4: D3B04004 1C209D04
	v_pk_fma_f32 v[6:7], v[6:7], s[78:79], v[8:9]              // 0000000094AC: D3B04006 1C209D06
	v_pk_mul_f32 v[4:5], v[4:5], v[96:97]                      // 0000000094B4: D3B14004 1802C104
	v_pk_mul_f32 v[6:7], v[6:7], v[98:99]                      // 0000000094BC: D3B14006 1802C506
	v_pk_mul_f32 v[4:5], v[4:5], s[60:61]                      // 0000000094C4: D3B14004 18007904
	v_pk_mul_f32 v[6:7], v[6:7], s[60:61]                      // 0000000094CC: D3B14006 18007906
	v_exp_f32_e32 v4, v4                                       // 0000000094D4: 7E084104
	v_exp_f32_e32 v5, v5                                       // 0000000094D8: 7E0A4105
	v_exp_f32_e32 v6, v6                                       // 0000000094DC: 7E0C4106
	v_exp_f32_e32 v7, v7                                       // 0000000094E0: 7E0E4107
	v_add_f32_e64 v4, v4, 1.0                                  // 0000000094E4: D1010004 0001E504
	v_add_f32_e64 v5, v5, 1.0                                  // 0000000094EC: D1010005 0001E505
	v_add_f32_e64 v6, v6, 1.0                                  // 0000000094F4: D1010006 0001E506
	v_add_f32_e64 v7, v7, 1.0                                  // 0000000094FC: D1010007 0001E507
	v_rcp_f32_e32 v4, v4                                       // 000000009504: 7E084504
	v_rcp_f32_e32 v5, v5                                       // 000000009508: 7E0A4505
	v_rcp_f32_e32 v6, v6                                       // 00000000950C: 7E0C4506
	v_rcp_f32_e32 v7, v7                                       // 000000009510: 7E0E4507
	v_mul_f32_e32 v96, v96, v4                                 // 000000009514: 0AC00960
	v_mul_f32_e32 v97, v97, v5                                 // 000000009518: 0AC20B61
	v_mul_f32_e32 v98, v98, v6                                 // 00000000951C: 0AC40D62
	v_mul_f32_e32 v99, v99, v7                                 // 000000009520: 0AC60F63
	v_mul_f32_e32 v96, v96, v160                               // 000000009524: 0AC14160
	v_mul_f32_e32 v97, v97, v161                               // 000000009528: 0AC34361
	v_mul_f32_e32 v98, v98, v162                               // 00000000952C: 0AC54562
	v_mul_f32_e32 v99, v99, v163                               // 000000009530: 0AC74763
	v_pk_mul_f32 v[4:5], v[100:101], v[100:101]                // 000000009534: D3B14004 1802C964
	v_pk_mul_f32 v[6:7], v[102:103], v[102:103]                // 00000000953C: D3B14006 1802CD66
	v_pk_fma_f32 v[4:5], v[4:5], s[78:79], v[8:9]              // 000000009544: D3B04004 1C209D04
	v_pk_fma_f32 v[6:7], v[6:7], s[78:79], v[8:9]              // 00000000954C: D3B04006 1C209D06
	v_pk_mul_f32 v[4:5], v[4:5], v[100:101]                    // 000000009554: D3B14004 1802C904
	v_pk_mul_f32 v[6:7], v[6:7], v[102:103]                    // 00000000955C: D3B14006 1802CD06
	v_pk_mul_f32 v[4:5], v[4:5], s[60:61]                      // 000000009564: D3B14004 18007904
	v_pk_mul_f32 v[6:7], v[6:7], s[60:61]                      // 00000000956C: D3B14006 18007906
	v_exp_f32_e32 v4, v4                                       // 000000009574: 7E084104
	v_exp_f32_e32 v5, v5                                       // 000000009578: 7E0A4105
	v_exp_f32_e32 v6, v6                                       // 00000000957C: 7E0C4106
	v_exp_f32_e32 v7, v7                                       // 000000009580: 7E0E4107
	v_add_f32_e64 v4, v4, 1.0                                  // 000000009584: D1010004 0001E504
	v_add_f32_e64 v5, v5, 1.0                                  // 00000000958C: D1010005 0001E505
	v_add_f32_e64 v6, v6, 1.0                                  // 000000009594: D1010006 0001E506
	v_add_f32_e64 v7, v7, 1.0                                  // 00000000959C: D1010007 0001E507
	v_rcp_f32_e32 v4, v4                                       // 0000000095A4: 7E084504
	v_rcp_f32_e32 v5, v5                                       // 0000000095A8: 7E0A4505
	v_rcp_f32_e32 v6, v6                                       // 0000000095AC: 7E0C4506
	v_rcp_f32_e32 v7, v7                                       // 0000000095B0: 7E0E4507
	v_mul_f32_e32 v100, v100, v4                               // 0000000095B4: 0AC80964
	v_mul_f32_e32 v101, v101, v5                               // 0000000095B8: 0ACA0B65
	v_mul_f32_e32 v102, v102, v6                               // 0000000095BC: 0ACC0D66
	v_mul_f32_e32 v103, v103, v7                               // 0000000095C0: 0ACE0F67
	v_mul_f32_e32 v100, v100, v164                             // 0000000095C4: 0AC94964
	v_mul_f32_e32 v101, v101, v165                             // 0000000095C8: 0ACB4B65
	v_mul_f32_e32 v102, v102, v166                             // 0000000095CC: 0ACD4D66
	v_mul_f32_e32 v103, v103, v167                             // 0000000095D0: 0ACF4F67
	v_pk_mul_f32 v[4:5], v[104:105], v[104:105]                // 0000000095D4: D3B14004 1802D168
	v_pk_mul_f32 v[6:7], v[106:107], v[106:107]                // 0000000095DC: D3B14006 1802D56A
	v_pk_fma_f32 v[4:5], v[4:5], s[78:79], v[8:9]              // 0000000095E4: D3B04004 1C209D04
	v_pk_fma_f32 v[6:7], v[6:7], s[78:79], v[8:9]              // 0000000095EC: D3B04006 1C209D06
	v_pk_mul_f32 v[4:5], v[4:5], v[104:105]                    // 0000000095F4: D3B14004 1802D104
	v_pk_mul_f32 v[6:7], v[6:7], v[106:107]                    // 0000000095FC: D3B14006 1802D506
	v_pk_mul_f32 v[4:5], v[4:5], s[60:61]                      // 000000009604: D3B14004 18007904
	v_pk_mul_f32 v[6:7], v[6:7], s[60:61]                      // 00000000960C: D3B14006 18007906
	v_exp_f32_e32 v4, v4                                       // 000000009614: 7E084104
	v_exp_f32_e32 v5, v5                                       // 000000009618: 7E0A4105
	v_exp_f32_e32 v6, v6                                       // 00000000961C: 7E0C4106
	v_exp_f32_e32 v7, v7                                       // 000000009620: 7E0E4107
	v_add_f32_e64 v4, v4, 1.0                                  // 000000009624: D1010004 0001E504
	v_add_f32_e64 v5, v5, 1.0                                  // 00000000962C: D1010005 0001E505
	v_add_f32_e64 v6, v6, 1.0                                  // 000000009634: D1010006 0001E506
	v_add_f32_e64 v7, v7, 1.0                                  // 00000000963C: D1010007 0001E507
	v_rcp_f32_e32 v4, v4                                       // 000000009644: 7E084504
	v_rcp_f32_e32 v5, v5                                       // 000000009648: 7E0A4505
	v_rcp_f32_e32 v6, v6                                       // 00000000964C: 7E0C4506
	v_rcp_f32_e32 v7, v7                                       // 000000009650: 7E0E4507
	v_mul_f32_e32 v104, v104, v4                               // 000000009654: 0AD00968
	v_mul_f32_e32 v105, v105, v5                               // 000000009658: 0AD20B69
	v_mul_f32_e32 v106, v106, v6                               // 00000000965C: 0AD40D6A
	v_mul_f32_e32 v107, v107, v7                               // 000000009660: 0AD60F6B
	v_mul_f32_e32 v104, v104, v168                             // 000000009664: 0AD15168
	v_mul_f32_e32 v105, v105, v169                             // 000000009668: 0AD35369
	v_mul_f32_e32 v106, v106, v170                             // 00000000966C: 0AD5556A
	v_mul_f32_e32 v107, v107, v171                             // 000000009670: 0AD7576B
	v_pk_mul_f32 v[4:5], v[108:109], v[108:109]                // 000000009674: D3B14004 1802D96C
	v_pk_mul_f32 v[6:7], v[110:111], v[110:111]                // 00000000967C: D3B14006 1802DD6E
	v_pk_fma_f32 v[4:5], v[4:5], s[78:79], v[8:9]              // 000000009684: D3B04004 1C209D04
	v_pk_fma_f32 v[6:7], v[6:7], s[78:79], v[8:9]              // 00000000968C: D3B04006 1C209D06
	v_pk_mul_f32 v[4:5], v[4:5], v[108:109]                    // 000000009694: D3B14004 1802D904
	v_pk_mul_f32 v[6:7], v[6:7], v[110:111]                    // 00000000969C: D3B14006 1802DD06
	v_pk_mul_f32 v[4:5], v[4:5], s[60:61]                      // 0000000096A4: D3B14004 18007904
	v_pk_mul_f32 v[6:7], v[6:7], s[60:61]                      // 0000000096AC: D3B14006 18007906
	v_exp_f32_e32 v4, v4                                       // 0000000096B4: 7E084104
	v_exp_f32_e32 v5, v5                                       // 0000000096B8: 7E0A4105
	v_exp_f32_e32 v6, v6                                       // 0000000096BC: 7E0C4106
	v_exp_f32_e32 v7, v7                                       // 0000000096C0: 7E0E4107
	v_add_f32_e64 v4, v4, 1.0                                  // 0000000096C4: D1010004 0001E504
	v_add_f32_e64 v5, v5, 1.0                                  // 0000000096CC: D1010005 0001E505
	v_add_f32_e64 v6, v6, 1.0                                  // 0000000096D4: D1010006 0001E506
	v_add_f32_e64 v7, v7, 1.0                                  // 0000000096DC: D1010007 0001E507
	v_rcp_f32_e32 v4, v4                                       // 0000000096E4: 7E084504
	v_rcp_f32_e32 v5, v5                                       // 0000000096E8: 7E0A4505
	v_rcp_f32_e32 v6, v6                                       // 0000000096EC: 7E0C4506
	v_rcp_f32_e32 v7, v7                                       // 0000000096F0: 7E0E4507
	v_mul_f32_e32 v108, v108, v4                               // 0000000096F4: 0AD8096C
	v_mul_f32_e32 v109, v109, v5                               // 0000000096F8: 0ADA0B6D
	v_mul_f32_e32 v110, v110, v6                               // 0000000096FC: 0ADC0D6E
	v_mul_f32_e32 v111, v111, v7                               // 000000009700: 0ADE0F6F
	v_mul_f32_e32 v108, v108, v172                             // 000000009704: 0AD9596C
	v_mul_f32_e32 v109, v109, v173                             // 000000009708: 0ADB5B6D
	v_mul_f32_e32 v110, v110, v174                             // 00000000970C: 0ADD5D6E
	v_mul_f32_e32 v111, v111, v175                             // 000000009710: 0ADF5F6F
	v_pk_mul_f32 v[4:5], v[112:113], v[112:113]                // 000000009714: D3B14004 1802E170
	v_pk_mul_f32 v[6:7], v[114:115], v[114:115]                // 00000000971C: D3B14006 1802E572
	v_pk_fma_f32 v[4:5], v[4:5], s[78:79], v[8:9]              // 000000009724: D3B04004 1C209D04
	v_pk_fma_f32 v[6:7], v[6:7], s[78:79], v[8:9]              // 00000000972C: D3B04006 1C209D06
	v_pk_mul_f32 v[4:5], v[4:5], v[112:113]                    // 000000009734: D3B14004 1802E104
	v_pk_mul_f32 v[6:7], v[6:7], v[114:115]                    // 00000000973C: D3B14006 1802E506
	v_pk_mul_f32 v[4:5], v[4:5], s[60:61]                      // 000000009744: D3B14004 18007904
	v_pk_mul_f32 v[6:7], v[6:7], s[60:61]                      // 00000000974C: D3B14006 18007906
	v_exp_f32_e32 v4, v4                                       // 000000009754: 7E084104
	v_exp_f32_e32 v5, v5                                       // 000000009758: 7E0A4105
	v_exp_f32_e32 v6, v6                                       // 00000000975C: 7E0C4106
	v_exp_f32_e32 v7, v7                                       // 000000009760: 7E0E4107
	v_add_f32_e64 v4, v4, 1.0                                  // 000000009764: D1010004 0001E504
	v_add_f32_e64 v5, v5, 1.0                                  // 00000000976C: D1010005 0001E505
	v_add_f32_e64 v6, v6, 1.0                                  // 000000009774: D1010006 0001E506
	v_add_f32_e64 v7, v7, 1.0                                  // 00000000977C: D1010007 0001E507
	v_rcp_f32_e32 v4, v4                                       // 000000009784: 7E084504
	v_rcp_f32_e32 v5, v5                                       // 000000009788: 7E0A4505
	v_rcp_f32_e32 v6, v6                                       // 00000000978C: 7E0C4506
	v_rcp_f32_e32 v7, v7                                       // 000000009790: 7E0E4507
	v_mul_f32_e32 v112, v112, v4                               // 000000009794: 0AE00970
	v_mul_f32_e32 v113, v113, v5                               // 000000009798: 0AE20B71
	v_mul_f32_e32 v114, v114, v6                               // 00000000979C: 0AE40D72
	v_mul_f32_e32 v115, v115, v7                               // 0000000097A0: 0AE60F73
	v_mul_f32_e32 v112, v112, v176                             // 0000000097A4: 0AE16170
	v_mul_f32_e32 v113, v113, v177                             // 0000000097A8: 0AE36371
	v_mul_f32_e32 v114, v114, v178                             // 0000000097AC: 0AE56572
	v_mul_f32_e32 v115, v115, v179                             // 0000000097B0: 0AE76773
	v_pk_mul_f32 v[4:5], v[116:117], v[116:117]                // 0000000097B4: D3B14004 1802E974
	v_pk_mul_f32 v[6:7], v[118:119], v[118:119]                // 0000000097BC: D3B14006 1802ED76
	v_pk_fma_f32 v[4:5], v[4:5], s[78:79], v[8:9]              // 0000000097C4: D3B04004 1C209D04
	v_pk_fma_f32 v[6:7], v[6:7], s[78:79], v[8:9]              // 0000000097CC: D3B04006 1C209D06
	v_pk_mul_f32 v[4:5], v[4:5], v[116:117]                    // 0000000097D4: D3B14004 1802E904
	v_pk_mul_f32 v[6:7], v[6:7], v[118:119]                    // 0000000097DC: D3B14006 1802ED06
	v_pk_mul_f32 v[4:5], v[4:5], s[60:61]                      // 0000000097E4: D3B14004 18007904
	v_pk_mul_f32 v[6:7], v[6:7], s[60:61]                      // 0000000097EC: D3B14006 18007906
	v_exp_f32_e32 v4, v4                                       // 0000000097F4: 7E084104
	v_exp_f32_e32 v5, v5                                       // 0000000097F8: 7E0A4105
	v_exp_f32_e32 v6, v6                                       // 0000000097FC: 7E0C4106
	v_exp_f32_e32 v7, v7                                       // 000000009800: 7E0E4107
	v_add_f32_e64 v4, v4, 1.0                                  // 000000009804: D1010004 0001E504
	v_add_f32_e64 v5, v5, 1.0                                  // 00000000980C: D1010005 0001E505
	v_add_f32_e64 v6, v6, 1.0                                  // 000000009814: D1010006 0001E506
	v_add_f32_e64 v7, v7, 1.0                                  // 00000000981C: D1010007 0001E507
	v_rcp_f32_e32 v4, v4                                       // 000000009824: 7E084504
	v_rcp_f32_e32 v5, v5                                       // 000000009828: 7E0A4505
	v_rcp_f32_e32 v6, v6                                       // 00000000982C: 7E0C4506
	v_rcp_f32_e32 v7, v7                                       // 000000009830: 7E0E4507
	v_mul_f32_e32 v116, v116, v4                               // 000000009834: 0AE80974
	v_mul_f32_e32 v117, v117, v5                               // 000000009838: 0AEA0B75
	v_mul_f32_e32 v118, v118, v6                               // 00000000983C: 0AEC0D76
	v_mul_f32_e32 v119, v119, v7                               // 000000009840: 0AEE0F77
	v_mul_f32_e32 v116, v116, v180                             // 000000009844: 0AE96974
	v_mul_f32_e32 v117, v117, v181                             // 000000009848: 0AEB6B75
	v_mul_f32_e32 v118, v118, v182                             // 00000000984C: 0AED6D76
	v_mul_f32_e32 v119, v119, v183                             // 000000009850: 0AEF6F77
	s_branch label_1D99                                        // 000000009854: BF820200

0000000000009858 <label_1B99>:
	v_mul_f32_e64 v4, -v56, s6                                 // 000000009858: D1050004 20000D38
	v_mul_f32_e64 v5, -v57, s6                                 // 000000009860: D1050005 20000D39
	v_mul_f32_e64 v6, -v58, s6                                 // 000000009868: D1050006 20000D3A
	v_mul_f32_e64 v7, -v59, s6                                 // 000000009870: D1050007 20000D3B
	v_exp_f32_e32 v4, v4                                       // 000000009878: 7E084104
	v_exp_f32_e32 v5, v5                                       // 00000000987C: 7E0A4105
	v_exp_f32_e32 v6, v6                                       // 000000009880: 7E0C4106
	v_exp_f32_e32 v7, v7                                       // 000000009884: 7E0E4107
	v_add_f32_e64 v4, v4, 1.0                                  // 000000009888: D1010004 0001E504
	v_add_f32_e64 v5, v5, 1.0                                  // 000000009890: D1010005 0001E505
	v_add_f32_e64 v6, v6, 1.0                                  // 000000009898: D1010006 0001E506
	v_add_f32_e64 v7, v7, 1.0                                  // 0000000098A0: D1010007 0001E507
	v_rcp_f32_e32 v4, v4                                       // 0000000098A8: 7E084504
	v_rcp_f32_e32 v5, v5                                       // 0000000098AC: 7E0A4505
	v_rcp_f32_e32 v6, v6                                       // 0000000098B0: 7E0C4506
	v_rcp_f32_e32 v7, v7                                       // 0000000098B4: 7E0E4507
	v_mul_f32_e32 v56, v56, v4                                 // 0000000098B8: 0A700938
	v_mul_f32_e32 v57, v57, v5                                 // 0000000098BC: 0A720B39
	v_mul_f32_e32 v58, v58, v6                                 // 0000000098C0: 0A740D3A
	v_mul_f32_e32 v59, v59, v7                                 // 0000000098C4: 0A760F3B
	v_mul_f32_e32 v56, v56, v120                               // 0000000098C8: 0A70F138
	v_mul_f32_e32 v57, v57, v121                               // 0000000098CC: 0A72F339
	v_mul_f32_e32 v58, v58, v122                               // 0000000098D0: 0A74F53A
	v_mul_f32_e32 v59, v59, v123                               // 0000000098D4: 0A76F73B
	v_mul_f32_e64 v4, -v60, s6                                 // 0000000098D8: D1050004 20000D3C
	v_mul_f32_e64 v5, -v61, s6                                 // 0000000098E0: D1050005 20000D3D
	v_mul_f32_e64 v6, -v62, s6                                 // 0000000098E8: D1050006 20000D3E
	v_mul_f32_e64 v7, -v63, s6                                 // 0000000098F0: D1050007 20000D3F
	v_exp_f32_e32 v4, v4                                       // 0000000098F8: 7E084104
	v_exp_f32_e32 v5, v5                                       // 0000000098FC: 7E0A4105
	v_exp_f32_e32 v6, v6                                       // 000000009900: 7E0C4106
	v_exp_f32_e32 v7, v7                                       // 000000009904: 7E0E4107
	v_add_f32_e64 v4, v4, 1.0                                  // 000000009908: D1010004 0001E504
	v_add_f32_e64 v5, v5, 1.0                                  // 000000009910: D1010005 0001E505
	v_add_f32_e64 v6, v6, 1.0                                  // 000000009918: D1010006 0001E506
	v_add_f32_e64 v7, v7, 1.0                                  // 000000009920: D1010007 0001E507
	v_rcp_f32_e32 v4, v4                                       // 000000009928: 7E084504
	v_rcp_f32_e32 v5, v5                                       // 00000000992C: 7E0A4505
	v_rcp_f32_e32 v6, v6                                       // 000000009930: 7E0C4506
	v_rcp_f32_e32 v7, v7                                       // 000000009934: 7E0E4507
	v_mul_f32_e32 v60, v60, v4                                 // 000000009938: 0A78093C
	v_mul_f32_e32 v61, v61, v5                                 // 00000000993C: 0A7A0B3D
	v_mul_f32_e32 v62, v62, v6                                 // 000000009940: 0A7C0D3E
	v_mul_f32_e32 v63, v63, v7                                 // 000000009944: 0A7E0F3F
	v_mul_f32_e32 v60, v60, v124                               // 000000009948: 0A78F93C
	v_mul_f32_e32 v61, v61, v125                               // 00000000994C: 0A7AFB3D
	v_mul_f32_e32 v62, v62, v126                               // 000000009950: 0A7CFD3E
	v_mul_f32_e32 v63, v63, v127                               // 000000009954: 0A7EFF3F
	v_mul_f32_e64 v4, -v64, s6                                 // 000000009958: D1050004 20000D40
	v_mul_f32_e64 v5, -v65, s6                                 // 000000009960: D1050005 20000D41
	v_mul_f32_e64 v6, -v66, s6                                 // 000000009968: D1050006 20000D42
	v_mul_f32_e64 v7, -v67, s6                                 // 000000009970: D1050007 20000D43
	v_exp_f32_e32 v4, v4                                       // 000000009978: 7E084104
	v_exp_f32_e32 v5, v5                                       // 00000000997C: 7E0A4105
	v_exp_f32_e32 v6, v6                                       // 000000009980: 7E0C4106
	v_exp_f32_e32 v7, v7                                       // 000000009984: 7E0E4107
	v_add_f32_e64 v4, v4, 1.0                                  // 000000009988: D1010004 0001E504
	v_add_f32_e64 v5, v5, 1.0                                  // 000000009990: D1010005 0001E505
	v_add_f32_e64 v6, v6, 1.0                                  // 000000009998: D1010006 0001E506
	v_add_f32_e64 v7, v7, 1.0                                  // 0000000099A0: D1010007 0001E507
	v_rcp_f32_e32 v4, v4                                       // 0000000099A8: 7E084504
	v_rcp_f32_e32 v5, v5                                       // 0000000099AC: 7E0A4505
	v_rcp_f32_e32 v6, v6                                       // 0000000099B0: 7E0C4506
	v_rcp_f32_e32 v7, v7                                       // 0000000099B4: 7E0E4507
	v_mul_f32_e32 v64, v64, v4                                 // 0000000099B8: 0A800940
	v_mul_f32_e32 v65, v65, v5                                 // 0000000099BC: 0A820B41
	v_mul_f32_e32 v66, v66, v6                                 // 0000000099C0: 0A840D42
	v_mul_f32_e32 v67, v67, v7                                 // 0000000099C4: 0A860F43
	v_mul_f32_e32 v64, v64, v128                               // 0000000099C8: 0A810140
	v_mul_f32_e32 v65, v65, v129                               // 0000000099CC: 0A830341
	v_mul_f32_e32 v66, v66, v130                               // 0000000099D0: 0A850542
	v_mul_f32_e32 v67, v67, v131                               // 0000000099D4: 0A870743
	v_mul_f32_e64 v4, -v68, s6                                 // 0000000099D8: D1050004 20000D44
	v_mul_f32_e64 v5, -v69, s6                                 // 0000000099E0: D1050005 20000D45
	v_mul_f32_e64 v6, -v70, s6                                 // 0000000099E8: D1050006 20000D46
	v_mul_f32_e64 v7, -v71, s6                                 // 0000000099F0: D1050007 20000D47
	v_exp_f32_e32 v4, v4                                       // 0000000099F8: 7E084104
	v_exp_f32_e32 v5, v5                                       // 0000000099FC: 7E0A4105
	v_exp_f32_e32 v6, v6                                       // 000000009A00: 7E0C4106
	v_exp_f32_e32 v7, v7                                       // 000000009A04: 7E0E4107
	v_add_f32_e64 v4, v4, 1.0                                  // 000000009A08: D1010004 0001E504
	v_add_f32_e64 v5, v5, 1.0                                  // 000000009A10: D1010005 0001E505
	v_add_f32_e64 v6, v6, 1.0                                  // 000000009A18: D1010006 0001E506
	v_add_f32_e64 v7, v7, 1.0                                  // 000000009A20: D1010007 0001E507
	v_rcp_f32_e32 v4, v4                                       // 000000009A28: 7E084504
	v_rcp_f32_e32 v5, v5                                       // 000000009A2C: 7E0A4505
	v_rcp_f32_e32 v6, v6                                       // 000000009A30: 7E0C4506
	v_rcp_f32_e32 v7, v7                                       // 000000009A34: 7E0E4507
	v_mul_f32_e32 v68, v68, v4                                 // 000000009A38: 0A880944
	v_mul_f32_e32 v69, v69, v5                                 // 000000009A3C: 0A8A0B45
	v_mul_f32_e32 v70, v70, v6                                 // 000000009A40: 0A8C0D46
	v_mul_f32_e32 v71, v71, v7                                 // 000000009A44: 0A8E0F47
	v_mul_f32_e32 v68, v68, v132                               // 000000009A48: 0A890944
	v_mul_f32_e32 v69, v69, v133                               // 000000009A4C: 0A8B0B45
	v_mul_f32_e32 v70, v70, v134                               // 000000009A50: 0A8D0D46
	v_mul_f32_e32 v71, v71, v135                               // 000000009A54: 0A8F0F47
	v_mul_f32_e64 v4, -v72, s6                                 // 000000009A58: D1050004 20000D48
	v_mul_f32_e64 v5, -v73, s6                                 // 000000009A60: D1050005 20000D49
	v_mul_f32_e64 v6, -v74, s6                                 // 000000009A68: D1050006 20000D4A
	v_mul_f32_e64 v7, -v75, s6                                 // 000000009A70: D1050007 20000D4B
	v_exp_f32_e32 v4, v4                                       // 000000009A78: 7E084104
	v_exp_f32_e32 v5, v5                                       // 000000009A7C: 7E0A4105
	v_exp_f32_e32 v6, v6                                       // 000000009A80: 7E0C4106
	v_exp_f32_e32 v7, v7                                       // 000000009A84: 7E0E4107
	v_add_f32_e64 v4, v4, 1.0                                  // 000000009A88: D1010004 0001E504
	v_add_f32_e64 v5, v5, 1.0                                  // 000000009A90: D1010005 0001E505
	v_add_f32_e64 v6, v6, 1.0                                  // 000000009A98: D1010006 0001E506
	v_add_f32_e64 v7, v7, 1.0                                  // 000000009AA0: D1010007 0001E507
	v_rcp_f32_e32 v4, v4                                       // 000000009AA8: 7E084504
	v_rcp_f32_e32 v5, v5                                       // 000000009AAC: 7E0A4505
	v_rcp_f32_e32 v6, v6                                       // 000000009AB0: 7E0C4506
	v_rcp_f32_e32 v7, v7                                       // 000000009AB4: 7E0E4507
	v_mul_f32_e32 v72, v72, v4                                 // 000000009AB8: 0A900948
	v_mul_f32_e32 v73, v73, v5                                 // 000000009ABC: 0A920B49
	v_mul_f32_e32 v74, v74, v6                                 // 000000009AC0: 0A940D4A
	v_mul_f32_e32 v75, v75, v7                                 // 000000009AC4: 0A960F4B
	v_mul_f32_e32 v72, v72, v136                               // 000000009AC8: 0A911148
	v_mul_f32_e32 v73, v73, v137                               // 000000009ACC: 0A931349
	v_mul_f32_e32 v74, v74, v138                               // 000000009AD0: 0A95154A
	v_mul_f32_e32 v75, v75, v139                               // 000000009AD4: 0A97174B
	v_mul_f32_e64 v4, -v76, s6                                 // 000000009AD8: D1050004 20000D4C
	v_mul_f32_e64 v5, -v77, s6                                 // 000000009AE0: D1050005 20000D4D
	v_mul_f32_e64 v6, -v78, s6                                 // 000000009AE8: D1050006 20000D4E
	v_mul_f32_e64 v7, -v79, s6                                 // 000000009AF0: D1050007 20000D4F
	v_exp_f32_e32 v4, v4                                       // 000000009AF8: 7E084104
	v_exp_f32_e32 v5, v5                                       // 000000009AFC: 7E0A4105
	v_exp_f32_e32 v6, v6                                       // 000000009B00: 7E0C4106
	v_exp_f32_e32 v7, v7                                       // 000000009B04: 7E0E4107
	v_add_f32_e64 v4, v4, 1.0                                  // 000000009B08: D1010004 0001E504
	v_add_f32_e64 v5, v5, 1.0                                  // 000000009B10: D1010005 0001E505
	v_add_f32_e64 v6, v6, 1.0                                  // 000000009B18: D1010006 0001E506
	v_add_f32_e64 v7, v7, 1.0                                  // 000000009B20: D1010007 0001E507
	v_rcp_f32_e32 v4, v4                                       // 000000009B28: 7E084504
	v_rcp_f32_e32 v5, v5                                       // 000000009B2C: 7E0A4505
	v_rcp_f32_e32 v6, v6                                       // 000000009B30: 7E0C4506
	v_rcp_f32_e32 v7, v7                                       // 000000009B34: 7E0E4507
	v_mul_f32_e32 v76, v76, v4                                 // 000000009B38: 0A98094C
	v_mul_f32_e32 v77, v77, v5                                 // 000000009B3C: 0A9A0B4D
	v_mul_f32_e32 v78, v78, v6                                 // 000000009B40: 0A9C0D4E
	v_mul_f32_e32 v79, v79, v7                                 // 000000009B44: 0A9E0F4F
	v_mul_f32_e32 v76, v76, v140                               // 000000009B48: 0A99194C
	v_mul_f32_e32 v77, v77, v141                               // 000000009B4C: 0A9B1B4D
	v_mul_f32_e32 v78, v78, v142                               // 000000009B50: 0A9D1D4E
	v_mul_f32_e32 v79, v79, v143                               // 000000009B54: 0A9F1F4F
	v_mul_f32_e64 v4, -v80, s6                                 // 000000009B58: D1050004 20000D50
	v_mul_f32_e64 v5, -v81, s6                                 // 000000009B60: D1050005 20000D51
	v_mul_f32_e64 v6, -v82, s6                                 // 000000009B68: D1050006 20000D52
	v_mul_f32_e64 v7, -v83, s6                                 // 000000009B70: D1050007 20000D53
	v_exp_f32_e32 v4, v4                                       // 000000009B78: 7E084104
	v_exp_f32_e32 v5, v5                                       // 000000009B7C: 7E0A4105
	v_exp_f32_e32 v6, v6                                       // 000000009B80: 7E0C4106
	v_exp_f32_e32 v7, v7                                       // 000000009B84: 7E0E4107
	v_add_f32_e64 v4, v4, 1.0                                  // 000000009B88: D1010004 0001E504
	v_add_f32_e64 v5, v5, 1.0                                  // 000000009B90: D1010005 0001E505
	v_add_f32_e64 v6, v6, 1.0                                  // 000000009B98: D1010006 0001E506
	v_add_f32_e64 v7, v7, 1.0                                  // 000000009BA0: D1010007 0001E507
	v_rcp_f32_e32 v4, v4                                       // 000000009BA8: 7E084504
	v_rcp_f32_e32 v5, v5                                       // 000000009BAC: 7E0A4505
	v_rcp_f32_e32 v6, v6                                       // 000000009BB0: 7E0C4506
	v_rcp_f32_e32 v7, v7                                       // 000000009BB4: 7E0E4507
	v_mul_f32_e32 v80, v80, v4                                 // 000000009BB8: 0AA00950
	v_mul_f32_e32 v81, v81, v5                                 // 000000009BBC: 0AA20B51
	v_mul_f32_e32 v82, v82, v6                                 // 000000009BC0: 0AA40D52
	v_mul_f32_e32 v83, v83, v7                                 // 000000009BC4: 0AA60F53
	v_mul_f32_e32 v80, v80, v144                               // 000000009BC8: 0AA12150
	v_mul_f32_e32 v81, v81, v145                               // 000000009BCC: 0AA32351
	v_mul_f32_e32 v82, v82, v146                               // 000000009BD0: 0AA52552
	v_mul_f32_e32 v83, v83, v147                               // 000000009BD4: 0AA72753
	v_mul_f32_e64 v4, -v84, s6                                 // 000000009BD8: D1050004 20000D54
	v_mul_f32_e64 v5, -v85, s6                                 // 000000009BE0: D1050005 20000D55
	v_mul_f32_e64 v6, -v86, s6                                 // 000000009BE8: D1050006 20000D56
	v_mul_f32_e64 v7, -v87, s6                                 // 000000009BF0: D1050007 20000D57
	v_exp_f32_e32 v4, v4                                       // 000000009BF8: 7E084104
	v_exp_f32_e32 v5, v5                                       // 000000009BFC: 7E0A4105
	v_exp_f32_e32 v6, v6                                       // 000000009C00: 7E0C4106
	v_exp_f32_e32 v7, v7                                       // 000000009C04: 7E0E4107
	v_add_f32_e64 v4, v4, 1.0                                  // 000000009C08: D1010004 0001E504
	v_add_f32_e64 v5, v5, 1.0                                  // 000000009C10: D1010005 0001E505
	v_add_f32_e64 v6, v6, 1.0                                  // 000000009C18: D1010006 0001E506
	v_add_f32_e64 v7, v7, 1.0                                  // 000000009C20: D1010007 0001E507
	v_rcp_f32_e32 v4, v4                                       // 000000009C28: 7E084504
	v_rcp_f32_e32 v5, v5                                       // 000000009C2C: 7E0A4505
	v_rcp_f32_e32 v6, v6                                       // 000000009C30: 7E0C4506
	v_rcp_f32_e32 v7, v7                                       // 000000009C34: 7E0E4507
	v_mul_f32_e32 v84, v84, v4                                 // 000000009C38: 0AA80954
	v_mul_f32_e32 v85, v85, v5                                 // 000000009C3C: 0AAA0B55
	v_mul_f32_e32 v86, v86, v6                                 // 000000009C40: 0AAC0D56
	v_mul_f32_e32 v87, v87, v7                                 // 000000009C44: 0AAE0F57
	v_mul_f32_e32 v84, v84, v148                               // 000000009C48: 0AA92954
	v_mul_f32_e32 v85, v85, v149                               // 000000009C4C: 0AAB2B55
	v_mul_f32_e32 v86, v86, v150                               // 000000009C50: 0AAD2D56
	v_mul_f32_e32 v87, v87, v151                               // 000000009C54: 0AAF2F57
	v_mul_f32_e64 v4, -v88, s6                                 // 000000009C58: D1050004 20000D58
	v_mul_f32_e64 v5, -v89, s6                                 // 000000009C60: D1050005 20000D59
	v_mul_f32_e64 v6, -v90, s6                                 // 000000009C68: D1050006 20000D5A
	v_mul_f32_e64 v7, -v91, s6                                 // 000000009C70: D1050007 20000D5B
	v_exp_f32_e32 v4, v4                                       // 000000009C78: 7E084104
	v_exp_f32_e32 v5, v5                                       // 000000009C7C: 7E0A4105
	v_exp_f32_e32 v6, v6                                       // 000000009C80: 7E0C4106
	v_exp_f32_e32 v7, v7                                       // 000000009C84: 7E0E4107
	v_add_f32_e64 v4, v4, 1.0                                  // 000000009C88: D1010004 0001E504
	v_add_f32_e64 v5, v5, 1.0                                  // 000000009C90: D1010005 0001E505
	v_add_f32_e64 v6, v6, 1.0                                  // 000000009C98: D1010006 0001E506
	v_add_f32_e64 v7, v7, 1.0                                  // 000000009CA0: D1010007 0001E507
	v_rcp_f32_e32 v4, v4                                       // 000000009CA8: 7E084504
	v_rcp_f32_e32 v5, v5                                       // 000000009CAC: 7E0A4505
	v_rcp_f32_e32 v6, v6                                       // 000000009CB0: 7E0C4506
	v_rcp_f32_e32 v7, v7                                       // 000000009CB4: 7E0E4507
	v_mul_f32_e32 v88, v88, v4                                 // 000000009CB8: 0AB00958
	v_mul_f32_e32 v89, v89, v5                                 // 000000009CBC: 0AB20B59
	v_mul_f32_e32 v90, v90, v6                                 // 000000009CC0: 0AB40D5A
	v_mul_f32_e32 v91, v91, v7                                 // 000000009CC4: 0AB60F5B
	v_mul_f32_e32 v88, v88, v152                               // 000000009CC8: 0AB13158
	v_mul_f32_e32 v89, v89, v153                               // 000000009CCC: 0AB33359
	v_mul_f32_e32 v90, v90, v154                               // 000000009CD0: 0AB5355A
	v_mul_f32_e32 v91, v91, v155                               // 000000009CD4: 0AB7375B
	v_mul_f32_e64 v4, -v92, s6                                 // 000000009CD8: D1050004 20000D5C
	v_mul_f32_e64 v5, -v93, s6                                 // 000000009CE0: D1050005 20000D5D
	v_mul_f32_e64 v6, -v94, s6                                 // 000000009CE8: D1050006 20000D5E
	v_mul_f32_e64 v7, -v95, s6                                 // 000000009CF0: D1050007 20000D5F
	v_exp_f32_e32 v4, v4                                       // 000000009CF8: 7E084104
	v_exp_f32_e32 v5, v5                                       // 000000009CFC: 7E0A4105
	v_exp_f32_e32 v6, v6                                       // 000000009D00: 7E0C4106
	v_exp_f32_e32 v7, v7                                       // 000000009D04: 7E0E4107
	v_add_f32_e64 v4, v4, 1.0                                  // 000000009D08: D1010004 0001E504
	v_add_f32_e64 v5, v5, 1.0                                  // 000000009D10: D1010005 0001E505
	v_add_f32_e64 v6, v6, 1.0                                  // 000000009D18: D1010006 0001E506
	v_add_f32_e64 v7, v7, 1.0                                  // 000000009D20: D1010007 0001E507
	v_rcp_f32_e32 v4, v4                                       // 000000009D28: 7E084504
	v_rcp_f32_e32 v5, v5                                       // 000000009D2C: 7E0A4505
	v_rcp_f32_e32 v6, v6                                       // 000000009D30: 7E0C4506
	v_rcp_f32_e32 v7, v7                                       // 000000009D34: 7E0E4507
	v_mul_f32_e32 v92, v92, v4                                 // 000000009D38: 0AB8095C
	v_mul_f32_e32 v93, v93, v5                                 // 000000009D3C: 0ABA0B5D
	v_mul_f32_e32 v94, v94, v6                                 // 000000009D40: 0ABC0D5E
	v_mul_f32_e32 v95, v95, v7                                 // 000000009D44: 0ABE0F5F
	v_mul_f32_e32 v92, v92, v156                               // 000000009D48: 0AB9395C
	v_mul_f32_e32 v93, v93, v157                               // 000000009D4C: 0ABB3B5D
	v_mul_f32_e32 v94, v94, v158                               // 000000009D50: 0ABD3D5E
	v_mul_f32_e32 v95, v95, v159                               // 000000009D54: 0ABF3F5F
	v_mul_f32_e64 v4, -v96, s6                                 // 000000009D58: D1050004 20000D60
	v_mul_f32_e64 v5, -v97, s6                                 // 000000009D60: D1050005 20000D61
	v_mul_f32_e64 v6, -v98, s6                                 // 000000009D68: D1050006 20000D62
	v_mul_f32_e64 v7, -v99, s6                                 // 000000009D70: D1050007 20000D63
	v_exp_f32_e32 v4, v4                                       // 000000009D78: 7E084104
	v_exp_f32_e32 v5, v5                                       // 000000009D7C: 7E0A4105
	v_exp_f32_e32 v6, v6                                       // 000000009D80: 7E0C4106
	v_exp_f32_e32 v7, v7                                       // 000000009D84: 7E0E4107
	v_add_f32_e64 v4, v4, 1.0                                  // 000000009D88: D1010004 0001E504
	v_add_f32_e64 v5, v5, 1.0                                  // 000000009D90: D1010005 0001E505
	v_add_f32_e64 v6, v6, 1.0                                  // 000000009D98: D1010006 0001E506
	v_add_f32_e64 v7, v7, 1.0                                  // 000000009DA0: D1010007 0001E507
	v_rcp_f32_e32 v4, v4                                       // 000000009DA8: 7E084504
	v_rcp_f32_e32 v5, v5                                       // 000000009DAC: 7E0A4505
	v_rcp_f32_e32 v6, v6                                       // 000000009DB0: 7E0C4506
	v_rcp_f32_e32 v7, v7                                       // 000000009DB4: 7E0E4507
	v_mul_f32_e32 v96, v96, v4                                 // 000000009DB8: 0AC00960
	v_mul_f32_e32 v97, v97, v5                                 // 000000009DBC: 0AC20B61
	v_mul_f32_e32 v98, v98, v6                                 // 000000009DC0: 0AC40D62
	v_mul_f32_e32 v99, v99, v7                                 // 000000009DC4: 0AC60F63
	v_mul_f32_e32 v96, v96, v160                               // 000000009DC8: 0AC14160
	v_mul_f32_e32 v97, v97, v161                               // 000000009DCC: 0AC34361
	v_mul_f32_e32 v98, v98, v162                               // 000000009DD0: 0AC54562
	v_mul_f32_e32 v99, v99, v163                               // 000000009DD4: 0AC74763
	v_mul_f32_e64 v4, -v100, s6                                // 000000009DD8: D1050004 20000D64
	v_mul_f32_e64 v5, -v101, s6                                // 000000009DE0: D1050005 20000D65
	v_mul_f32_e64 v6, -v102, s6                                // 000000009DE8: D1050006 20000D66
	v_mul_f32_e64 v7, -v103, s6                                // 000000009DF0: D1050007 20000D67
	v_exp_f32_e32 v4, v4                                       // 000000009DF8: 7E084104
	v_exp_f32_e32 v5, v5                                       // 000000009DFC: 7E0A4105
	v_exp_f32_e32 v6, v6                                       // 000000009E00: 7E0C4106
	v_exp_f32_e32 v7, v7                                       // 000000009E04: 7E0E4107
	v_add_f32_e64 v4, v4, 1.0                                  // 000000009E08: D1010004 0001E504
	v_add_f32_e64 v5, v5, 1.0                                  // 000000009E10: D1010005 0001E505
	v_add_f32_e64 v6, v6, 1.0                                  // 000000009E18: D1010006 0001E506
	v_add_f32_e64 v7, v7, 1.0                                  // 000000009E20: D1010007 0001E507
	v_rcp_f32_e32 v4, v4                                       // 000000009E28: 7E084504
	v_rcp_f32_e32 v5, v5                                       // 000000009E2C: 7E0A4505
	v_rcp_f32_e32 v6, v6                                       // 000000009E30: 7E0C4506
	v_rcp_f32_e32 v7, v7                                       // 000000009E34: 7E0E4507
	v_mul_f32_e32 v100, v100, v4                               // 000000009E38: 0AC80964
	v_mul_f32_e32 v101, v101, v5                               // 000000009E3C: 0ACA0B65
	v_mul_f32_e32 v102, v102, v6                               // 000000009E40: 0ACC0D66
	v_mul_f32_e32 v103, v103, v7                               // 000000009E44: 0ACE0F67
	v_mul_f32_e32 v100, v100, v164                             // 000000009E48: 0AC94964
	v_mul_f32_e32 v101, v101, v165                             // 000000009E4C: 0ACB4B65
	v_mul_f32_e32 v102, v102, v166                             // 000000009E50: 0ACD4D66
	v_mul_f32_e32 v103, v103, v167                             // 000000009E54: 0ACF4F67
	v_mul_f32_e64 v4, -v104, s6                                // 000000009E58: D1050004 20000D68
	v_mul_f32_e64 v5, -v105, s6                                // 000000009E60: D1050005 20000D69
	v_mul_f32_e64 v6, -v106, s6                                // 000000009E68: D1050006 20000D6A
	v_mul_f32_e64 v7, -v107, s6                                // 000000009E70: D1050007 20000D6B
	v_exp_f32_e32 v4, v4                                       // 000000009E78: 7E084104
	v_exp_f32_e32 v5, v5                                       // 000000009E7C: 7E0A4105
	v_exp_f32_e32 v6, v6                                       // 000000009E80: 7E0C4106
	v_exp_f32_e32 v7, v7                                       // 000000009E84: 7E0E4107
	v_add_f32_e64 v4, v4, 1.0                                  // 000000009E88: D1010004 0001E504
	v_add_f32_e64 v5, v5, 1.0                                  // 000000009E90: D1010005 0001E505
	v_add_f32_e64 v6, v6, 1.0                                  // 000000009E98: D1010006 0001E506
	v_add_f32_e64 v7, v7, 1.0                                  // 000000009EA0: D1010007 0001E507
	v_rcp_f32_e32 v4, v4                                       // 000000009EA8: 7E084504
	v_rcp_f32_e32 v5, v5                                       // 000000009EAC: 7E0A4505
	v_rcp_f32_e32 v6, v6                                       // 000000009EB0: 7E0C4506
	v_rcp_f32_e32 v7, v7                                       // 000000009EB4: 7E0E4507
	v_mul_f32_e32 v104, v104, v4                               // 000000009EB8: 0AD00968
	v_mul_f32_e32 v105, v105, v5                               // 000000009EBC: 0AD20B69
	v_mul_f32_e32 v106, v106, v6                               // 000000009EC0: 0AD40D6A
	v_mul_f32_e32 v107, v107, v7                               // 000000009EC4: 0AD60F6B
	v_mul_f32_e32 v104, v104, v168                             // 000000009EC8: 0AD15168
	v_mul_f32_e32 v105, v105, v169                             // 000000009ECC: 0AD35369
	v_mul_f32_e32 v106, v106, v170                             // 000000009ED0: 0AD5556A
	v_mul_f32_e32 v107, v107, v171                             // 000000009ED4: 0AD7576B
	v_mul_f32_e64 v4, -v108, s6                                // 000000009ED8: D1050004 20000D6C
	v_mul_f32_e64 v5, -v109, s6                                // 000000009EE0: D1050005 20000D6D
	v_mul_f32_e64 v6, -v110, s6                                // 000000009EE8: D1050006 20000D6E
	v_mul_f32_e64 v7, -v111, s6                                // 000000009EF0: D1050007 20000D6F
	v_exp_f32_e32 v4, v4                                       // 000000009EF8: 7E084104
	v_exp_f32_e32 v5, v5                                       // 000000009EFC: 7E0A4105
	v_exp_f32_e32 v6, v6                                       // 000000009F00: 7E0C4106
	v_exp_f32_e32 v7, v7                                       // 000000009F04: 7E0E4107
	v_add_f32_e64 v4, v4, 1.0                                  // 000000009F08: D1010004 0001E504
	v_add_f32_e64 v5, v5, 1.0                                  // 000000009F10: D1010005 0001E505
	v_add_f32_e64 v6, v6, 1.0                                  // 000000009F18: D1010006 0001E506
	v_add_f32_e64 v7, v7, 1.0                                  // 000000009F20: D1010007 0001E507
	v_rcp_f32_e32 v4, v4                                       // 000000009F28: 7E084504
	v_rcp_f32_e32 v5, v5                                       // 000000009F2C: 7E0A4505
	v_rcp_f32_e32 v6, v6                                       // 000000009F30: 7E0C4506
	v_rcp_f32_e32 v7, v7                                       // 000000009F34: 7E0E4507
	v_mul_f32_e32 v108, v108, v4                               // 000000009F38: 0AD8096C
	v_mul_f32_e32 v109, v109, v5                               // 000000009F3C: 0ADA0B6D
	v_mul_f32_e32 v110, v110, v6                               // 000000009F40: 0ADC0D6E
	v_mul_f32_e32 v111, v111, v7                               // 000000009F44: 0ADE0F6F
	v_mul_f32_e32 v108, v108, v172                             // 000000009F48: 0AD9596C
	v_mul_f32_e32 v109, v109, v173                             // 000000009F4C: 0ADB5B6D
	v_mul_f32_e32 v110, v110, v174                             // 000000009F50: 0ADD5D6E
	v_mul_f32_e32 v111, v111, v175                             // 000000009F54: 0ADF5F6F
	v_mul_f32_e64 v4, -v112, s6                                // 000000009F58: D1050004 20000D70
	v_mul_f32_e64 v5, -v113, s6                                // 000000009F60: D1050005 20000D71
	v_mul_f32_e64 v6, -v114, s6                                // 000000009F68: D1050006 20000D72
	v_mul_f32_e64 v7, -v115, s6                                // 000000009F70: D1050007 20000D73
	v_exp_f32_e32 v4, v4                                       // 000000009F78: 7E084104
	v_exp_f32_e32 v5, v5                                       // 000000009F7C: 7E0A4105
	v_exp_f32_e32 v6, v6                                       // 000000009F80: 7E0C4106
	v_exp_f32_e32 v7, v7                                       // 000000009F84: 7E0E4107
	v_add_f32_e64 v4, v4, 1.0                                  // 000000009F88: D1010004 0001E504
	v_add_f32_e64 v5, v5, 1.0                                  // 000000009F90: D1010005 0001E505
	v_add_f32_e64 v6, v6, 1.0                                  // 000000009F98: D1010006 0001E506
	v_add_f32_e64 v7, v7, 1.0                                  // 000000009FA0: D1010007 0001E507
	v_rcp_f32_e32 v4, v4                                       // 000000009FA8: 7E084504
	v_rcp_f32_e32 v5, v5                                       // 000000009FAC: 7E0A4505
	v_rcp_f32_e32 v6, v6                                       // 000000009FB0: 7E0C4506
	v_rcp_f32_e32 v7, v7                                       // 000000009FB4: 7E0E4507
	v_mul_f32_e32 v112, v112, v4                               // 000000009FB8: 0AE00970
	v_mul_f32_e32 v113, v113, v5                               // 000000009FBC: 0AE20B71
	v_mul_f32_e32 v114, v114, v6                               // 000000009FC0: 0AE40D72
	v_mul_f32_e32 v115, v115, v7                               // 000000009FC4: 0AE60F73
	v_mul_f32_e32 v112, v112, v176                             // 000000009FC8: 0AE16170
	v_mul_f32_e32 v113, v113, v177                             // 000000009FCC: 0AE36371
	v_mul_f32_e32 v114, v114, v178                             // 000000009FD0: 0AE56572
	v_mul_f32_e32 v115, v115, v179                             // 000000009FD4: 0AE76773
	v_mul_f32_e64 v4, -v116, s6                                // 000000009FD8: D1050004 20000D74
	v_mul_f32_e64 v5, -v117, s6                                // 000000009FE0: D1050005 20000D75
	v_mul_f32_e64 v6, -v118, s6                                // 000000009FE8: D1050006 20000D76
	v_mul_f32_e64 v7, -v119, s6                                // 000000009FF0: D1050007 20000D77
	v_exp_f32_e32 v4, v4                                       // 000000009FF8: 7E084104
	v_exp_f32_e32 v5, v5                                       // 000000009FFC: 7E0A4105
	v_exp_f32_e32 v6, v6                                       // 00000000A000: 7E0C4106
	v_exp_f32_e32 v7, v7                                       // 00000000A004: 7E0E4107
	v_add_f32_e64 v4, v4, 1.0                                  // 00000000A008: D1010004 0001E504
	v_add_f32_e64 v5, v5, 1.0                                  // 00000000A010: D1010005 0001E505
	v_add_f32_e64 v6, v6, 1.0                                  // 00000000A018: D1010006 0001E506
	v_add_f32_e64 v7, v7, 1.0                                  // 00000000A020: D1010007 0001E507
	v_rcp_f32_e32 v4, v4                                       // 00000000A028: 7E084504
	v_rcp_f32_e32 v5, v5                                       // 00000000A02C: 7E0A4505
	v_rcp_f32_e32 v6, v6                                       // 00000000A030: 7E0C4506
	v_rcp_f32_e32 v7, v7                                       // 00000000A034: 7E0E4507
	v_mul_f32_e32 v116, v116, v4                               // 00000000A038: 0AE80974
	v_mul_f32_e32 v117, v117, v5                               // 00000000A03C: 0AEA0B75
	v_mul_f32_e32 v118, v118, v6                               // 00000000A040: 0AEC0D76
	v_mul_f32_e32 v119, v119, v7                               // 00000000A044: 0AEE0F77
	v_mul_f32_e32 v116, v116, v180                             // 00000000A048: 0AE96974
	v_mul_f32_e32 v117, v117, v181                             // 00000000A04C: 0AEB6B75
	v_mul_f32_e32 v118, v118, v182                             // 00000000A050: 0AED6D76
	v_mul_f32_e32 v119, v119, v183                             // 00000000A054: 0AEF6F77

000000000000a058 <label_1D99>:
	v_cmp_u_f32_e64 s[46:47], v56, v56                         // 00000000A058: D048002E 00027138
	v_add3_u32 v16, v56, v19, 1                                // 00000000A060: D1FF0010 02062738
	v_cndmask_b32_e64 v4, v16, v18, s[46:47]                   // 00000000A068: D1000004 00BA2510
	v_cmp_u_f32_e64 s[46:47], v57, v57                         // 00000000A070: D048002E 00027339
	v_add3_u32 v16, v57, v19, 1                                // 00000000A078: D1FF0010 02062739
	v_cndmask_b32_e64 v5, v16, v18, s[46:47]                   // 00000000A080: D1000005 00BA2510
	v_perm_b32 v56, v5, v4, s52                                // 00000000A088: D1ED0038 00D20905
	v_cmp_u_f32_e64 s[46:47], v58, v58                         // 00000000A090: D048002E 0002753A
	v_add3_u32 v16, v58, v19, 1                                // 00000000A098: D1FF0010 0206273A
	v_cndmask_b32_e64 v4, v16, v18, s[46:47]                   // 00000000A0A0: D1000004 00BA2510
	v_cmp_u_f32_e64 s[46:47], v59, v59                         // 00000000A0A8: D048002E 0002773B
	v_add3_u32 v16, v59, v19, 1                                // 00000000A0B0: D1FF0010 0206273B
	v_cndmask_b32_e64 v5, v16, v18, s[46:47]                   // 00000000A0B8: D1000005 00BA2510
	v_perm_b32 v57, v5, v4, s52                                // 00000000A0C0: D1ED0039 00D20905
	v_cmp_u_f32_e64 s[46:47], v60, v60                         // 00000000A0C8: D048002E 0002793C
	v_add3_u32 v16, v60, v19, 1                                // 00000000A0D0: D1FF0010 0206273C
	v_cndmask_b32_e64 v4, v16, v18, s[46:47]                   // 00000000A0D8: D1000004 00BA2510
	v_cmp_u_f32_e64 s[46:47], v61, v61                         // 00000000A0E0: D048002E 00027B3D
	v_add3_u32 v16, v61, v19, 1                                // 00000000A0E8: D1FF0010 0206273D
	v_cndmask_b32_e64 v5, v16, v18, s[46:47]                   // 00000000A0F0: D1000005 00BA2510
	v_perm_b32 v58, v5, v4, s52                                // 00000000A0F8: D1ED003A 00D20905
	v_cmp_u_f32_e64 s[46:47], v62, v62                         // 00000000A100: D048002E 00027D3E
	v_add3_u32 v16, v62, v19, 1                                // 00000000A108: D1FF0010 0206273E
	v_cndmask_b32_e64 v4, v16, v18, s[46:47]                   // 00000000A110: D1000004 00BA2510
	v_cmp_u_f32_e64 s[46:47], v63, v63                         // 00000000A118: D048002E 00027F3F
	v_add3_u32 v16, v63, v19, 1                                // 00000000A120: D1FF0010 0206273F
	v_cndmask_b32_e64 v5, v16, v18, s[46:47]                   // 00000000A128: D1000005 00BA2510
	v_perm_b32 v59, v5, v4, s52                                // 00000000A130: D1ED003B 00D20905
	v_cmp_u_f32_e64 s[46:47], v64, v64                         // 00000000A138: D048002E 00028140
	v_add3_u32 v16, v64, v19, 1                                // 00000000A140: D1FF0010 02062740
	v_cndmask_b32_e64 v4, v16, v18, s[46:47]                   // 00000000A148: D1000004 00BA2510
	v_cmp_u_f32_e64 s[46:47], v65, v65                         // 00000000A150: D048002E 00028341
	v_add3_u32 v16, v65, v19, 1                                // 00000000A158: D1FF0010 02062741
	v_cndmask_b32_e64 v5, v16, v18, s[46:47]                   // 00000000A160: D1000005 00BA2510
	v_perm_b32 v60, v5, v4, s52                                // 00000000A168: D1ED003C 00D20905
	v_cmp_u_f32_e64 s[46:47], v66, v66                         // 00000000A170: D048002E 00028542
	v_add3_u32 v16, v66, v19, 1                                // 00000000A178: D1FF0010 02062742
	v_cndmask_b32_e64 v4, v16, v18, s[46:47]                   // 00000000A180: D1000004 00BA2510
	v_cmp_u_f32_e64 s[46:47], v67, v67                         // 00000000A188: D048002E 00028743
	v_add3_u32 v16, v67, v19, 1                                // 00000000A190: D1FF0010 02062743
	v_cndmask_b32_e64 v5, v16, v18, s[46:47]                   // 00000000A198: D1000005 00BA2510
	v_perm_b32 v61, v5, v4, s52                                // 00000000A1A0: D1ED003D 00D20905
	v_cmp_u_f32_e64 s[46:47], v68, v68                         // 00000000A1A8: D048002E 00028944
	v_add3_u32 v16, v68, v19, 1                                // 00000000A1B0: D1FF0010 02062744
	v_cndmask_b32_e64 v4, v16, v18, s[46:47]                   // 00000000A1B8: D1000004 00BA2510
	v_cmp_u_f32_e64 s[46:47], v69, v69                         // 00000000A1C0: D048002E 00028B45
	v_add3_u32 v16, v69, v19, 1                                // 00000000A1C8: D1FF0010 02062745
	v_cndmask_b32_e64 v5, v16, v18, s[46:47]                   // 00000000A1D0: D1000005 00BA2510
	v_perm_b32 v62, v5, v4, s52                                // 00000000A1D8: D1ED003E 00D20905
	v_cmp_u_f32_e64 s[46:47], v70, v70                         // 00000000A1E0: D048002E 00028D46
	v_add3_u32 v16, v70, v19, 1                                // 00000000A1E8: D1FF0010 02062746
	v_cndmask_b32_e64 v4, v16, v18, s[46:47]                   // 00000000A1F0: D1000004 00BA2510
	v_cmp_u_f32_e64 s[46:47], v71, v71                         // 00000000A1F8: D048002E 00028F47
	v_add3_u32 v16, v71, v19, 1                                // 00000000A200: D1FF0010 02062747
	v_cndmask_b32_e64 v5, v16, v18, s[46:47]                   // 00000000A208: D1000005 00BA2510
	v_perm_b32 v63, v5, v4, s52                                // 00000000A210: D1ED003F 00D20905
	v_cmp_u_f32_e64 s[46:47], v72, v72                         // 00000000A218: D048002E 00029148
	v_add3_u32 v16, v72, v19, 1                                // 00000000A220: D1FF0010 02062748
	v_cndmask_b32_e64 v4, v16, v18, s[46:47]                   // 00000000A228: D1000004 00BA2510
	v_cmp_u_f32_e64 s[46:47], v73, v73                         // 00000000A230: D048002E 00029349
	v_add3_u32 v16, v73, v19, 1                                // 00000000A238: D1FF0010 02062749
	v_cndmask_b32_e64 v5, v16, v18, s[46:47]                   // 00000000A240: D1000005 00BA2510
	v_perm_b32 v64, v5, v4, s52                                // 00000000A248: D1ED0040 00D20905
	v_cmp_u_f32_e64 s[46:47], v74, v74                         // 00000000A250: D048002E 0002954A
	v_add3_u32 v16, v74, v19, 1                                // 00000000A258: D1FF0010 0206274A
	v_cndmask_b32_e64 v4, v16, v18, s[46:47]                   // 00000000A260: D1000004 00BA2510
	v_cmp_u_f32_e64 s[46:47], v75, v75                         // 00000000A268: D048002E 0002974B
	v_add3_u32 v16, v75, v19, 1                                // 00000000A270: D1FF0010 0206274B
	v_cndmask_b32_e64 v5, v16, v18, s[46:47]                   // 00000000A278: D1000005 00BA2510
	v_perm_b32 v65, v5, v4, s52                                // 00000000A280: D1ED0041 00D20905
	v_cmp_u_f32_e64 s[46:47], v76, v76                         // 00000000A288: D048002E 0002994C
	v_add3_u32 v16, v76, v19, 1                                // 00000000A290: D1FF0010 0206274C
	v_cndmask_b32_e64 v4, v16, v18, s[46:47]                   // 00000000A298: D1000004 00BA2510
	v_cmp_u_f32_e64 s[46:47], v77, v77                         // 00000000A2A0: D048002E 00029B4D
	v_add3_u32 v16, v77, v19, 1                                // 00000000A2A8: D1FF0010 0206274D
	v_cndmask_b32_e64 v5, v16, v18, s[46:47]                   // 00000000A2B0: D1000005 00BA2510
	v_perm_b32 v66, v5, v4, s52                                // 00000000A2B8: D1ED0042 00D20905
	v_cmp_u_f32_e64 s[46:47], v78, v78                         // 00000000A2C0: D048002E 00029D4E
	v_add3_u32 v16, v78, v19, 1                                // 00000000A2C8: D1FF0010 0206274E
	v_cndmask_b32_e64 v4, v16, v18, s[46:47]                   // 00000000A2D0: D1000004 00BA2510
	v_cmp_u_f32_e64 s[46:47], v79, v79                         // 00000000A2D8: D048002E 00029F4F
	v_add3_u32 v16, v79, v19, 1                                // 00000000A2E0: D1FF0010 0206274F
	v_cndmask_b32_e64 v5, v16, v18, s[46:47]                   // 00000000A2E8: D1000005 00BA2510
	v_perm_b32 v67, v5, v4, s52                                // 00000000A2F0: D1ED0043 00D20905
	v_cmp_u_f32_e64 s[46:47], v80, v80                         // 00000000A2F8: D048002E 0002A150
	v_add3_u32 v16, v80, v19, 1                                // 00000000A300: D1FF0010 02062750
	v_cndmask_b32_e64 v4, v16, v18, s[46:47]                   // 00000000A308: D1000004 00BA2510
	v_cmp_u_f32_e64 s[46:47], v81, v81                         // 00000000A310: D048002E 0002A351
	v_add3_u32 v16, v81, v19, 1                                // 00000000A318: D1FF0010 02062751
	v_cndmask_b32_e64 v5, v16, v18, s[46:47]                   // 00000000A320: D1000005 00BA2510
	v_perm_b32 v68, v5, v4, s52                                // 00000000A328: D1ED0044 00D20905
	v_cmp_u_f32_e64 s[46:47], v82, v82                         // 00000000A330: D048002E 0002A552
	v_add3_u32 v16, v82, v19, 1                                // 00000000A338: D1FF0010 02062752
	v_cndmask_b32_e64 v4, v16, v18, s[46:47]                   // 00000000A340: D1000004 00BA2510
	v_cmp_u_f32_e64 s[46:47], v83, v83                         // 00000000A348: D048002E 0002A753
	v_add3_u32 v16, v83, v19, 1                                // 00000000A350: D1FF0010 02062753
	v_cndmask_b32_e64 v5, v16, v18, s[46:47]                   // 00000000A358: D1000005 00BA2510
	v_perm_b32 v69, v5, v4, s52                                // 00000000A360: D1ED0045 00D20905
	v_cmp_u_f32_e64 s[46:47], v84, v84                         // 00000000A368: D048002E 0002A954
	v_add3_u32 v16, v84, v19, 1                                // 00000000A370: D1FF0010 02062754
	v_cndmask_b32_e64 v4, v16, v18, s[46:47]                   // 00000000A378: D1000004 00BA2510
	v_cmp_u_f32_e64 s[46:47], v85, v85                         // 00000000A380: D048002E 0002AB55
	v_add3_u32 v16, v85, v19, 1                                // 00000000A388: D1FF0010 02062755
	v_cndmask_b32_e64 v5, v16, v18, s[46:47]                   // 00000000A390: D1000005 00BA2510
	v_perm_b32 v70, v5, v4, s52                                // 00000000A398: D1ED0046 00D20905
	v_cmp_u_f32_e64 s[46:47], v86, v86                         // 00000000A3A0: D048002E 0002AD56
	v_add3_u32 v16, v86, v19, 1                                // 00000000A3A8: D1FF0010 02062756
	v_cndmask_b32_e64 v4, v16, v18, s[46:47]                   // 00000000A3B0: D1000004 00BA2510
	v_cmp_u_f32_e64 s[46:47], v87, v87                         // 00000000A3B8: D048002E 0002AF57
	v_add3_u32 v16, v87, v19, 1                                // 00000000A3C0: D1FF0010 02062757
	v_cndmask_b32_e64 v5, v16, v18, s[46:47]                   // 00000000A3C8: D1000005 00BA2510
	v_perm_b32 v71, v5, v4, s52                                // 00000000A3D0: D1ED0047 00D20905
	v_cmp_u_f32_e64 s[46:47], v88, v88                         // 00000000A3D8: D048002E 0002B158
	v_add3_u32 v16, v88, v19, 1                                // 00000000A3E0: D1FF0010 02062758
	v_cndmask_b32_e64 v4, v16, v18, s[46:47]                   // 00000000A3E8: D1000004 00BA2510
	v_cmp_u_f32_e64 s[46:47], v89, v89                         // 00000000A3F0: D048002E 0002B359
	v_add3_u32 v16, v89, v19, 1                                // 00000000A3F8: D1FF0010 02062759
	v_cndmask_b32_e64 v5, v16, v18, s[46:47]                   // 00000000A400: D1000005 00BA2510
	v_perm_b32 v72, v5, v4, s52                                // 00000000A408: D1ED0048 00D20905
	v_cmp_u_f32_e64 s[46:47], v90, v90                         // 00000000A410: D048002E 0002B55A
	v_add3_u32 v16, v90, v19, 1                                // 00000000A418: D1FF0010 0206275A
	v_cndmask_b32_e64 v4, v16, v18, s[46:47]                   // 00000000A420: D1000004 00BA2510
	v_cmp_u_f32_e64 s[46:47], v91, v91                         // 00000000A428: D048002E 0002B75B
	v_add3_u32 v16, v91, v19, 1                                // 00000000A430: D1FF0010 0206275B
	v_cndmask_b32_e64 v5, v16, v18, s[46:47]                   // 00000000A438: D1000005 00BA2510
	v_perm_b32 v73, v5, v4, s52                                // 00000000A440: D1ED0049 00D20905
	v_cmp_u_f32_e64 s[46:47], v92, v92                         // 00000000A448: D048002E 0002B95C
	v_add3_u32 v16, v92, v19, 1                                // 00000000A450: D1FF0010 0206275C
	v_cndmask_b32_e64 v4, v16, v18, s[46:47]                   // 00000000A458: D1000004 00BA2510
	v_cmp_u_f32_e64 s[46:47], v93, v93                         // 00000000A460: D048002E 0002BB5D
	v_add3_u32 v16, v93, v19, 1                                // 00000000A468: D1FF0010 0206275D
	v_cndmask_b32_e64 v5, v16, v18, s[46:47]                   // 00000000A470: D1000005 00BA2510
	v_perm_b32 v74, v5, v4, s52                                // 00000000A478: D1ED004A 00D20905
	v_cmp_u_f32_e64 s[46:47], v94, v94                         // 00000000A480: D048002E 0002BD5E
	v_add3_u32 v16, v94, v19, 1                                // 00000000A488: D1FF0010 0206275E
	v_cndmask_b32_e64 v4, v16, v18, s[46:47]                   // 00000000A490: D1000004 00BA2510
	v_cmp_u_f32_e64 s[46:47], v95, v95                         // 00000000A498: D048002E 0002BF5F
	v_add3_u32 v16, v95, v19, 1                                // 00000000A4A0: D1FF0010 0206275F
	v_cndmask_b32_e64 v5, v16, v18, s[46:47]                   // 00000000A4A8: D1000005 00BA2510
	v_perm_b32 v75, v5, v4, s52                                // 00000000A4B0: D1ED004B 00D20905
	v_cmp_u_f32_e64 s[46:47], v96, v96                         // 00000000A4B8: D048002E 0002C160
	v_add3_u32 v16, v96, v19, 1                                // 00000000A4C0: D1FF0010 02062760
	v_cndmask_b32_e64 v4, v16, v18, s[46:47]                   // 00000000A4C8: D1000004 00BA2510
	v_cmp_u_f32_e64 s[46:47], v97, v97                         // 00000000A4D0: D048002E 0002C361
	v_add3_u32 v16, v97, v19, 1                                // 00000000A4D8: D1FF0010 02062761
	v_cndmask_b32_e64 v5, v16, v18, s[46:47]                   // 00000000A4E0: D1000005 00BA2510
	v_perm_b32 v76, v5, v4, s52                                // 00000000A4E8: D1ED004C 00D20905
	v_cmp_u_f32_e64 s[46:47], v98, v98                         // 00000000A4F0: D048002E 0002C562
	v_add3_u32 v16, v98, v19, 1                                // 00000000A4F8: D1FF0010 02062762
	v_cndmask_b32_e64 v4, v16, v18, s[46:47]                   // 00000000A500: D1000004 00BA2510
	v_cmp_u_f32_e64 s[46:47], v99, v99                         // 00000000A508: D048002E 0002C763
	v_add3_u32 v16, v99, v19, 1                                // 00000000A510: D1FF0010 02062763
	v_cndmask_b32_e64 v5, v16, v18, s[46:47]                   // 00000000A518: D1000005 00BA2510
	v_perm_b32 v77, v5, v4, s52                                // 00000000A520: D1ED004D 00D20905
	v_cmp_u_f32_e64 s[46:47], v100, v100                       // 00000000A528: D048002E 0002C964
	v_add3_u32 v16, v100, v19, 1                               // 00000000A530: D1FF0010 02062764
	v_cndmask_b32_e64 v4, v16, v18, s[46:47]                   // 00000000A538: D1000004 00BA2510
	v_cmp_u_f32_e64 s[46:47], v101, v101                       // 00000000A540: D048002E 0002CB65
	v_add3_u32 v16, v101, v19, 1                               // 00000000A548: D1FF0010 02062765
	v_cndmask_b32_e64 v5, v16, v18, s[46:47]                   // 00000000A550: D1000005 00BA2510
	v_perm_b32 v78, v5, v4, s52                                // 00000000A558: D1ED004E 00D20905
	v_cmp_u_f32_e64 s[46:47], v102, v102                       // 00000000A560: D048002E 0002CD66
	v_add3_u32 v16, v102, v19, 1                               // 00000000A568: D1FF0010 02062766
	v_cndmask_b32_e64 v4, v16, v18, s[46:47]                   // 00000000A570: D1000004 00BA2510
	v_cmp_u_f32_e64 s[46:47], v103, v103                       // 00000000A578: D048002E 0002CF67
	v_add3_u32 v16, v103, v19, 1                               // 00000000A580: D1FF0010 02062767
	v_cndmask_b32_e64 v5, v16, v18, s[46:47]                   // 00000000A588: D1000005 00BA2510
	v_perm_b32 v79, v5, v4, s52                                // 00000000A590: D1ED004F 00D20905
	v_cmp_u_f32_e64 s[46:47], v104, v104                       // 00000000A598: D048002E 0002D168
	v_add3_u32 v16, v104, v19, 1                               // 00000000A5A0: D1FF0010 02062768
	v_cndmask_b32_e64 v4, v16, v18, s[46:47]                   // 00000000A5A8: D1000004 00BA2510
	v_cmp_u_f32_e64 s[46:47], v105, v105                       // 00000000A5B0: D048002E 0002D369
	v_add3_u32 v16, v105, v19, 1                               // 00000000A5B8: D1FF0010 02062769
	v_cndmask_b32_e64 v5, v16, v18, s[46:47]                   // 00000000A5C0: D1000005 00BA2510
	v_perm_b32 v80, v5, v4, s52                                // 00000000A5C8: D1ED0050 00D20905
	v_cmp_u_f32_e64 s[46:47], v106, v106                       // 00000000A5D0: D048002E 0002D56A
	v_add3_u32 v16, v106, v19, 1                               // 00000000A5D8: D1FF0010 0206276A
	v_cndmask_b32_e64 v4, v16, v18, s[46:47]                   // 00000000A5E0: D1000004 00BA2510
	v_cmp_u_f32_e64 s[46:47], v107, v107                       // 00000000A5E8: D048002E 0002D76B
	v_add3_u32 v16, v107, v19, 1                               // 00000000A5F0: D1FF0010 0206276B
	v_cndmask_b32_e64 v5, v16, v18, s[46:47]                   // 00000000A5F8: D1000005 00BA2510
	v_perm_b32 v81, v5, v4, s52                                // 00000000A600: D1ED0051 00D20905
	v_cmp_u_f32_e64 s[46:47], v108, v108                       // 00000000A608: D048002E 0002D96C
	v_add3_u32 v16, v108, v19, 1                               // 00000000A610: D1FF0010 0206276C
	v_cndmask_b32_e64 v4, v16, v18, s[46:47]                   // 00000000A618: D1000004 00BA2510
	v_cmp_u_f32_e64 s[46:47], v109, v109                       // 00000000A620: D048002E 0002DB6D
	v_add3_u32 v16, v109, v19, 1                               // 00000000A628: D1FF0010 0206276D
	v_cndmask_b32_e64 v5, v16, v18, s[46:47]                   // 00000000A630: D1000005 00BA2510
	v_perm_b32 v82, v5, v4, s52                                // 00000000A638: D1ED0052 00D20905
	v_cmp_u_f32_e64 s[46:47], v110, v110                       // 00000000A640: D048002E 0002DD6E
	v_add3_u32 v16, v110, v19, 1                               // 00000000A648: D1FF0010 0206276E
	v_cndmask_b32_e64 v4, v16, v18, s[46:47]                   // 00000000A650: D1000004 00BA2510
	v_cmp_u_f32_e64 s[46:47], v111, v111                       // 00000000A658: D048002E 0002DF6F
	v_add3_u32 v16, v111, v19, 1                               // 00000000A660: D1FF0010 0206276F
	v_cndmask_b32_e64 v5, v16, v18, s[46:47]                   // 00000000A668: D1000005 00BA2510
	v_perm_b32 v83, v5, v4, s52                                // 00000000A670: D1ED0053 00D20905
	v_cmp_u_f32_e64 s[46:47], v112, v112                       // 00000000A678: D048002E 0002E170
	v_add3_u32 v16, v112, v19, 1                               // 00000000A680: D1FF0010 02062770
	v_cndmask_b32_e64 v4, v16, v18, s[46:47]                   // 00000000A688: D1000004 00BA2510
	v_cmp_u_f32_e64 s[46:47], v113, v113                       // 00000000A690: D048002E 0002E371
	v_add3_u32 v16, v113, v19, 1                               // 00000000A698: D1FF0010 02062771
	v_cndmask_b32_e64 v5, v16, v18, s[46:47]                   // 00000000A6A0: D1000005 00BA2510
	v_perm_b32 v84, v5, v4, s52                                // 00000000A6A8: D1ED0054 00D20905
	v_cmp_u_f32_e64 s[46:47], v114, v114                       // 00000000A6B0: D048002E 0002E572
	v_add3_u32 v16, v114, v19, 1                               // 00000000A6B8: D1FF0010 02062772
	v_cndmask_b32_e64 v4, v16, v18, s[46:47]                   // 00000000A6C0: D1000004 00BA2510
	v_cmp_u_f32_e64 s[46:47], v115, v115                       // 00000000A6C8: D048002E 0002E773
	v_add3_u32 v16, v115, v19, 1                               // 00000000A6D0: D1FF0010 02062773
	v_cndmask_b32_e64 v5, v16, v18, s[46:47]                   // 00000000A6D8: D1000005 00BA2510
	v_perm_b32 v85, v5, v4, s52                                // 00000000A6E0: D1ED0055 00D20905
	v_cmp_u_f32_e64 s[46:47], v116, v116                       // 00000000A6E8: D048002E 0002E974
	v_add3_u32 v16, v116, v19, 1                               // 00000000A6F0: D1FF0010 02062774
	v_cndmask_b32_e64 v4, v16, v18, s[46:47]                   // 00000000A6F8: D1000004 00BA2510
	v_cmp_u_f32_e64 s[46:47], v117, v117                       // 00000000A700: D048002E 0002EB75
	v_add3_u32 v16, v117, v19, 1                               // 00000000A708: D1FF0010 02062775
	v_cndmask_b32_e64 v5, v16, v18, s[46:47]                   // 00000000A710: D1000005 00BA2510
	v_perm_b32 v86, v5, v4, s52                                // 00000000A718: D1ED0056 00D20905
	v_cmp_u_f32_e64 s[46:47], v118, v118                       // 00000000A720: D048002E 0002ED76
	v_add3_u32 v16, v118, v19, 1                               // 00000000A728: D1FF0010 02062776
	v_cndmask_b32_e64 v4, v16, v18, s[46:47]                   // 00000000A730: D1000004 00BA2510
	v_cmp_u_f32_e64 s[46:47], v119, v119                       // 00000000A738: D048002E 0002EF77
	v_add3_u32 v16, v119, v19, 1                               // 00000000A740: D1FF0010 02062777
	v_cndmask_b32_e64 v5, v16, v18, s[46:47]                   // 00000000A748: D1000005 00BA2510
	v_perm_b32 v87, v5, v4, s52                                // 00000000A750: D1ED0057 00D20905
	ds_write_b64 v20, v[56:57]                                 // 00000000A758: D89A0000 00003814
	ds_write_b64 v20, v[58:59] offset:8704                     // 00000000A760: D89A2200 00003A14
	ds_write_b64 v20, v[60:61] offset:17408                    // 00000000A768: D89A4400 00003C14
	ds_write_b64 v20, v[62:63] offset:26112                    // 00000000A770: D89A6600 00003E14
	ds_write_b64 v20, v[64:65] offset:2176                     // 00000000A778: D89A0880 00004014
	ds_write_b64 v20, v[66:67] offset:10880                    // 00000000A780: D89A2A80 00004214
	ds_write_b64 v20, v[68:69] offset:19584                    // 00000000A788: D89A4C80 00004414
	ds_write_b64 v20, v[70:71] offset:28288                    // 00000000A790: D89A6E80 00004614
	ds_write_b64 v20, v[72:73] offset:4352                     // 00000000A798: D89A1100 00004814
	ds_write_b64 v20, v[74:75] offset:13056                    // 00000000A7A0: D89A3300 00004A14
	ds_write_b64 v20, v[76:77] offset:21760                    // 00000000A7A8: D89A5500 00004C14
	ds_write_b64 v20, v[78:79] offset:30464                    // 00000000A7B0: D89A7700 00004E14
	ds_write_b64 v20, v[80:81] offset:6528                     // 00000000A7B8: D89A1980 00005014
	ds_write_b64 v20, v[82:83] offset:15232                    // 00000000A7C0: D89A3B80 00005214
	ds_write_b64 v20, v[84:85] offset:23936                    // 00000000A7C8: D89A5D80 00005414
	ds_write_b64 v20, v[86:87] offset:32640                    // 00000000A7D0: D89A7F80 00005614
	v_lshrrev_b32_e32 v4, 5, v0                                // 00000000A7D8: 20080085
	v_xor_b32_e32 v5, 1, v4                                    // 00000000A7DC: 2A0A0881
	s_mul_i32 s60, s65, 2                                      // 00000000A7E0: 923C8241
	s_cmp_eq_u32 s88, 0                                        // 00000000A7E4: BF068058
	s_cselect_b32 s61, 1, 4                                    // 00000000A7E8: 853D8481
	s_mul_i32 s60, s61, s60                                    // 00000000A7EC: 923C3C3D
	v_readlane_b32 s82, v3, 0                                  // 00000000A7F0: D2890052 00010103
	s_lshr_b32 s61, s82, 24                                    // 00000000A7F8: 8F3D9852
	s_and_b32 s82, s82, 0xffffff                               // 00000000A7FC: 8652FF52 00FFFFFF
	s_mul_i32 s82, s82, s71                                    // 00000000A804: 92524752
	s_mul_i32 s61, s60, s61                                    // 00000000A808: 923D3D3C
	s_add_u32 s82, s82, s61                                    // 00000000A80C: 80523D52
	v_mul_lo_u32 v6, v5, s82                                   // 00000000A810: D2850006 0000A505
	v_readlane_b32 s82, v3, 1                                  // 00000000A818: D2890052 00010303
	s_lshr_b32 s61, s82, 24                                    // 00000000A820: 8F3D9852
	s_and_b32 s82, s82, 0xffffff                               // 00000000A824: 8652FF52 00FFFFFF
	s_mul_i32 s82, s82, s71                                    // 00000000A82C: 92524752
	s_mul_i32 s61, s60, s61                                    // 00000000A830: 923D3D3C
	s_add_u32 s82, s82, s61                                    // 00000000A834: 80523D52
	v_mul_lo_u32 v7, v4, s82                                   // 00000000A838: D2850007 0000A504
	v_add_u32_e32 v44, v6, v7                                  // 00000000A840: 68580F06
	v_readlane_b32 s82, v3, 2                                  // 00000000A844: D2890052 00010503
	s_lshr_b32 s61, s82, 24                                    // 00000000A84C: 8F3D9852
	s_and_b32 s82, s82, 0xffffff                               // 00000000A850: 8652FF52 00FFFFFF
	s_mul_i32 s82, s82, s71                                    // 00000000A858: 92524752
	s_mul_i32 s61, s60, s61                                    // 00000000A85C: 923D3D3C
	s_add_u32 s82, s82, s61                                    // 00000000A860: 80523D52
	v_mul_lo_u32 v6, v5, s82                                   // 00000000A864: D2850006 0000A505
	v_readlane_b32 s82, v3, 3                                  // 00000000A86C: D2890052 00010703
	s_lshr_b32 s61, s82, 24                                    // 00000000A874: 8F3D9852
	s_and_b32 s82, s82, 0xffffff                               // 00000000A878: 8652FF52 00FFFFFF
	s_mul_i32 s82, s82, s71                                    // 00000000A880: 92524752
	s_mul_i32 s61, s60, s61                                    // 00000000A884: 923D3D3C
	s_add_u32 s82, s82, s61                                    // 00000000A888: 80523D52
	v_mul_lo_u32 v7, v4, s82                                   // 00000000A88C: D2850007 0000A504
	v_add_u32_e32 v45, v6, v7                                  // 00000000A894: 685A0F06
	v_readlane_b32 s82, v3, 4                                  // 00000000A898: D2890052 00010903
	s_lshr_b32 s61, s82, 24                                    // 00000000A8A0: 8F3D9852
	s_and_b32 s82, s82, 0xffffff                               // 00000000A8A4: 8652FF52 00FFFFFF
	s_mul_i32 s82, s82, s71                                    // 00000000A8AC: 92524752
	s_mul_i32 s61, s60, s61                                    // 00000000A8B0: 923D3D3C
	s_add_u32 s82, s82, s61                                    // 00000000A8B4: 80523D52
	v_mul_lo_u32 v6, v5, s82                                   // 00000000A8B8: D2850006 0000A505
	v_readlane_b32 s82, v3, 5                                  // 00000000A8C0: D2890052 00010B03
	s_lshr_b32 s61, s82, 24                                    // 00000000A8C8: 8F3D9852
	s_and_b32 s82, s82, 0xffffff                               // 00000000A8CC: 8652FF52 00FFFFFF
	s_mul_i32 s82, s82, s71                                    // 00000000A8D4: 92524752
	s_mul_i32 s61, s60, s61                                    // 00000000A8D8: 923D3D3C
	s_add_u32 s82, s82, s61                                    // 00000000A8DC: 80523D52
	v_mul_lo_u32 v7, v4, s82                                   // 00000000A8E0: D2850007 0000A504
	v_add_u32_e32 v46, v6, v7                                  // 00000000A8E8: 685C0F06
	v_readlane_b32 s82, v3, 6                                  // 00000000A8EC: D2890052 00010D03
	s_lshr_b32 s61, s82, 24                                    // 00000000A8F4: 8F3D9852
	s_and_b32 s82, s82, 0xffffff                               // 00000000A8F8: 8652FF52 00FFFFFF
	s_mul_i32 s82, s82, s71                                    // 00000000A900: 92524752
	s_mul_i32 s61, s60, s61                                    // 00000000A904: 923D3D3C
	s_add_u32 s82, s82, s61                                    // 00000000A908: 80523D52
	v_mul_lo_u32 v6, v5, s82                                   // 00000000A90C: D2850006 0000A505
	v_readlane_b32 s82, v3, 7                                  // 00000000A914: D2890052 00010F03
	s_lshr_b32 s61, s82, 24                                    // 00000000A91C: 8F3D9852
	s_and_b32 s82, s82, 0xffffff                               // 00000000A920: 8652FF52 00FFFFFF
	s_mul_i32 s82, s82, s71                                    // 00000000A928: 92524752
	s_mul_i32 s61, s60, s61                                    // 00000000A92C: 923D3D3C
	s_add_u32 s82, s82, s61                                    // 00000000A930: 80523D52
	v_mul_lo_u32 v7, v4, s82                                   // 00000000A934: D2850007 0000A504
	v_add_u32_e32 v47, v6, v7                                  // 00000000A93C: 685E0F06
	v_readlane_b32 s82, v3, 8                                  // 00000000A940: D2890052 00011103
	s_lshr_b32 s61, s82, 24                                    // 00000000A948: 8F3D9852
	s_and_b32 s82, s82, 0xffffff                               // 00000000A94C: 8652FF52 00FFFFFF
	s_mul_i32 s82, s82, s71                                    // 00000000A954: 92524752
	s_mul_i32 s61, s60, s61                                    // 00000000A958: 923D3D3C
	s_add_u32 s82, s82, s61                                    // 00000000A95C: 80523D52
	v_mul_lo_u32 v6, v5, s82                                   // 00000000A960: D2850006 0000A505
	v_readlane_b32 s82, v3, 9                                  // 00000000A968: D2890052 00011303
	s_lshr_b32 s61, s82, 24                                    // 00000000A970: 8F3D9852
	s_and_b32 s82, s82, 0xffffff                               // 00000000A974: 8652FF52 00FFFFFF
	s_mul_i32 s82, s82, s71                                    // 00000000A97C: 92524752
	s_mul_i32 s61, s60, s61                                    // 00000000A980: 923D3D3C
	s_add_u32 s82, s82, s61                                    // 00000000A984: 80523D52
	v_mul_lo_u32 v7, v4, s82                                   // 00000000A988: D2850007 0000A504
	v_add_u32_e32 v48, v6, v7                                  // 00000000A990: 68600F06
	v_readlane_b32 s82, v3, 10                                 // 00000000A994: D2890052 00011503
	s_lshr_b32 s61, s82, 24                                    // 00000000A99C: 8F3D9852
	s_and_b32 s82, s82, 0xffffff                               // 00000000A9A0: 8652FF52 00FFFFFF
	s_mul_i32 s82, s82, s71                                    // 00000000A9A8: 92524752
	s_mul_i32 s61, s60, s61                                    // 00000000A9AC: 923D3D3C
	s_add_u32 s82, s82, s61                                    // 00000000A9B0: 80523D52
	v_mul_lo_u32 v6, v5, s82                                   // 00000000A9B4: D2850006 0000A505
	v_readlane_b32 s82, v3, 11                                 // 00000000A9BC: D2890052 00011703
	s_lshr_b32 s61, s82, 24                                    // 00000000A9C4: 8F3D9852
	s_and_b32 s82, s82, 0xffffff                               // 00000000A9C8: 8652FF52 00FFFFFF
	s_mul_i32 s82, s82, s71                                    // 00000000A9D0: 92524752
	s_mul_i32 s61, s60, s61                                    // 00000000A9D4: 923D3D3C
	s_add_u32 s82, s82, s61                                    // 00000000A9D8: 80523D52
	v_mul_lo_u32 v7, v4, s82                                   // 00000000A9DC: D2850007 0000A504
	v_add_u32_e32 v49, v6, v7                                  // 00000000A9E4: 68620F06
	v_readlane_b32 s82, v3, 12                                 // 00000000A9E8: D2890052 00011903
	s_lshr_b32 s61, s82, 24                                    // 00000000A9F0: 8F3D9852
	s_and_b32 s82, s82, 0xffffff                               // 00000000A9F4: 8652FF52 00FFFFFF
	s_mul_i32 s82, s82, s71                                    // 00000000A9FC: 92524752
	s_mul_i32 s61, s60, s61                                    // 00000000AA00: 923D3D3C
	s_add_u32 s82, s82, s61                                    // 00000000AA04: 80523D52
	v_mul_lo_u32 v6, v5, s82                                   // 00000000AA08: D2850006 0000A505
	v_readlane_b32 s82, v3, 13                                 // 00000000AA10: D2890052 00011B03
	s_lshr_b32 s61, s82, 24                                    // 00000000AA18: 8F3D9852
	s_and_b32 s82, s82, 0xffffff                               // 00000000AA1C: 8652FF52 00FFFFFF
	s_mul_i32 s82, s82, s71                                    // 00000000AA24: 92524752
	s_mul_i32 s61, s60, s61                                    // 00000000AA28: 923D3D3C
	s_add_u32 s82, s82, s61                                    // 00000000AA2C: 80523D52
	v_mul_lo_u32 v7, v4, s82                                   // 00000000AA30: D2850007 0000A504
	v_add_u32_e32 v50, v6, v7                                  // 00000000AA38: 68640F06
	v_readlane_b32 s82, v3, 14                                 // 00000000AA3C: D2890052 00011D03
	s_lshr_b32 s61, s82, 24                                    // 00000000AA44: 8F3D9852
	s_and_b32 s82, s82, 0xffffff                               // 00000000AA48: 8652FF52 00FFFFFF
	s_mul_i32 s82, s82, s71                                    // 00000000AA50: 92524752
	s_mul_i32 s61, s60, s61                                    // 00000000AA54: 923D3D3C
	s_add_u32 s82, s82, s61                                    // 00000000AA58: 80523D52
	v_mul_lo_u32 v6, v5, s82                                   // 00000000AA5C: D2850006 0000A505
	v_readlane_b32 s82, v3, 15                                 // 00000000AA64: D2890052 00011F03
	s_lshr_b32 s61, s82, 24                                    // 00000000AA6C: 8F3D9852
	s_and_b32 s82, s82, 0xffffff                               // 00000000AA70: 8652FF52 00FFFFFF
	s_mul_i32 s82, s82, s71                                    // 00000000AA78: 92524752
	s_mul_i32 s61, s60, s61                                    // 00000000AA7C: 923D3D3C
	s_add_u32 s82, s82, s61                                    // 00000000AA80: 80523D52
	v_mul_lo_u32 v7, v4, s82                                   // 00000000AA84: D2850007 0000A504
	v_add_u32_e32 v51, v6, v7                                  // 00000000AA8C: 68660F06
	v_and_b32_e32 v4, 31, v0                                   // 00000000AA90: 2608009F
	v_lshrrev_b32_e32 v4, 1, v4                                // 00000000AA94: 20080881
	s_cmp_eq_u32 s88, 0                                        // 00000000AA98: BF068058
	s_cselect_b32 s61, 2, 4                                    // 00000000AA9C: 853D8482
	v_mul_lo_u32 v4, v4, s61                                   // 00000000AAA0: D2850004 00007B04
	v_and_b32_e64 v5, v0, 1                                    // 00000000AAA8: D1130005 00010300
	v_add_u32_e32 v4, v4, v5                                   // 00000000AAB0: 68080B04
	v_lshlrev_b32_e32 v4, 2, v4                                // 00000000AAB4: 24080882
	v_add_u32_e32 v44, v44, v4                                 // 00000000AAB8: 6858092C
	v_add_u32_e32 v45, v45, v4                                 // 00000000AABC: 685A092D
	v_add_u32_e32 v46, v46, v4                                 // 00000000AAC0: 685C092E
	v_add_u32_e32 v47, v47, v4                                 // 00000000AAC4: 685E092F
	v_add_u32_e32 v48, v48, v4                                 // 00000000AAC8: 68600930
	v_add_u32_e32 v49, v49, v4                                 // 00000000AACC: 68620931
	v_add_u32_e32 v50, v50, v4                                 // 00000000AAD0: 68640932
	v_add_u32_e32 v51, v51, v4                                 // 00000000AAD4: 68660933
	s_waitcnt lgkmcnt(0)                                       // 00000000AAD8: BF8CC07F
	s_barrier                                                  // 00000000AADC: BF8A0000
	ds_read_b32 v56, v21                                       // 00000000AAE0: D86C0000 38000015
	ds_read_b32 v57, v21 offset:64                             // 00000000AAE8: D86C0040 39000015
	ds_read_b32 v58, v21 offset:2176                           // 00000000AAF0: D86C0880 3A000015
	ds_read_b32 v59, v21 offset:2240                           // 00000000AAF8: D86C08C0 3B000015
	ds_read_b32 v60, v21 offset:4352                           // 00000000AB00: D86C1100 3C000015
	ds_read_b32 v61, v21 offset:4416                           // 00000000AB08: D86C1140 3D000015
	ds_read_b32 v62, v21 offset:6528                           // 00000000AB10: D86C1980 3E000015
	ds_read_b32 v63, v21 offset:6592                           // 00000000AB18: D86C19C0 3F000015
	ds_read_b32 v64, v21 offset:8704                           // 00000000AB20: D86C2200 40000015
	ds_read_b32 v65, v21 offset:8768                           // 00000000AB28: D86C2240 41000015
	ds_read_b32 v66, v21 offset:10880                          // 00000000AB30: D86C2A80 42000015
	ds_read_b32 v67, v21 offset:10944                          // 00000000AB38: D86C2AC0 43000015
	ds_read_b32 v68, v21 offset:13056                          // 00000000AB40: D86C3300 44000015
	ds_read_b32 v69, v21 offset:13120                          // 00000000AB48: D86C3340 45000015
	ds_read_b32 v70, v21 offset:15232                          // 00000000AB50: D86C3B80 46000015
	ds_read_b32 v71, v21 offset:15296                          // 00000000AB58: D86C3BC0 47000015
	ds_read_b32 v72, v21 offset:17408                          // 00000000AB60: D86C4400 48000015
	ds_read_b32 v73, v21 offset:17472                          // 00000000AB68: D86C4440 49000015
	ds_read_b32 v74, v21 offset:19584                          // 00000000AB70: D86C4C80 4A000015
	ds_read_b32 v75, v21 offset:19648                          // 00000000AB78: D86C4CC0 4B000015
	ds_read_b32 v76, v21 offset:21760                          // 00000000AB80: D86C5500 4C000015
	ds_read_b32 v77, v21 offset:21824                          // 00000000AB88: D86C5540 4D000015
	ds_read_b32 v78, v21 offset:23936                          // 00000000AB90: D86C5D80 4E000015
	ds_read_b32 v79, v21 offset:24000                          // 00000000AB98: D86C5DC0 4F000015
	ds_read_b32 v80, v21 offset:26112                          // 00000000ABA0: D86C6600 50000015
	ds_read_b32 v81, v21 offset:26176                          // 00000000ABA8: D86C6640 51000015
	ds_read_b32 v82, v21 offset:28288                          // 00000000ABB0: D86C6E80 52000015
	ds_read_b32 v83, v21 offset:28352                          // 00000000ABB8: D86C6EC0 53000015
	ds_read_b32 v84, v21 offset:30464                          // 00000000ABC0: D86C7700 54000015
	ds_read_b32 v85, v21 offset:30528                          // 00000000ABC8: D86C7740 55000015
	ds_read_b32 v86, v21 offset:32640                          // 00000000ABD0: D86C7F80 56000015
	ds_read_b32 v87, v21 offset:32704                          // 00000000ABD8: D86C7FC0 57000015
	s_waitcnt lgkmcnt(0)                                       // 00000000ABE0: BF8CC07F
	s_mov_b32 s36, -1                                          // 00000000ABE4: BEA400C1
	s_mov_b32 s37, -1                                          // 00000000ABE8: BEA500C1
	v_mov_b32_e32 v7, 0                                        // 00000000ABEC: 7E0E0280
	s_or_b32 s9, s9, 0x40000                                   // 00000000ABF0: 8709FF09 00040000
	s_mov_b64 exec, s[36:37]                                   // 00000000ABF8: BEFE0124
	v_mov_b32_e32 v6, v44                                      // 00000000ABFC: 7E0C032C
	s_mov_b64 s[60:61], 0                                      // 00000000AC00: BEBC0180
	v_readlane_b32 s82, v3, 0                                  // 00000000AC04: D2890052 00010103
	s_and_b32 s82, s82, 0xffffff                               // 00000000AC0C: 8652FF52 00FFFFFF
	s_cmp_lt_u32 s82, s66                                      // 00000000AC14: BF0A4252
	s_cselect_b32 s20, s36, s60                                // 00000000AC18: 85143C24
	v_readlane_b32 s82, v3, 1                                  // 00000000AC1C: D2890052 00010303
	s_and_b32 s82, s82, 0xffffff                               // 00000000AC24: 8652FF52 00FFFFFF
	s_cmp_lt_u32 s82, s66                                      // 00000000AC2C: BF0A4252
	s_cselect_b32 s21, s36, s60                                // 00000000AC30: 85153C24
	s_mov_b64 exec, s[20:21]                                   // 00000000AC34: BEFE0114
	buffer_store_dword v56, v6, s[8:11], 0 offen               // 00000000AC38: E0701000 80023806
	buffer_store_dword v58, v6, s[8:11], 0 offen offset:128    // 00000000AC40: E0701080 80023A06
	buffer_store_dword v60, v6, s[8:11], 0 offen offset:256    // 00000000AC48: E0701100 80023C06
	buffer_store_dword v62, v6, s[8:11], 0 offen offset:384    // 00000000AC50: E0701180 80023E06
	s_mov_b64 exec, s[36:37]                                   // 00000000AC58: BEFE0124
	v_mov_b32_e32 v6, v45                                      // 00000000AC5C: 7E0C032D
	s_mov_b64 s[60:61], 0                                      // 00000000AC60: BEBC0180
	v_readlane_b32 s82, v3, 2                                  // 00000000AC64: D2890052 00010503
	s_and_b32 s82, s82, 0xffffff                               // 00000000AC6C: 8652FF52 00FFFFFF
	s_cmp_lt_u32 s82, s66                                      // 00000000AC74: BF0A4252
	s_cselect_b32 s20, s36, s60                                // 00000000AC78: 85143C24
	v_readlane_b32 s82, v3, 3                                  // 00000000AC7C: D2890052 00010703
	s_and_b32 s82, s82, 0xffffff                               // 00000000AC84: 8652FF52 00FFFFFF
	s_cmp_lt_u32 s82, s66                                      // 00000000AC8C: BF0A4252
	s_cselect_b32 s21, s36, s60                                // 00000000AC90: 85153C24
	s_mov_b64 exec, s[20:21]                                   // 00000000AC94: BEFE0114
	buffer_store_dword v57, v6, s[8:11], 0 offen               // 00000000AC98: E0701000 80023906
	buffer_store_dword v59, v6, s[8:11], 0 offen offset:128    // 00000000ACA0: E0701080 80023B06
	buffer_store_dword v61, v6, s[8:11], 0 offen offset:256    // 00000000ACA8: E0701100 80023D06
	buffer_store_dword v63, v6, s[8:11], 0 offen offset:384    // 00000000ACB0: E0701180 80023F06
	s_mov_b64 exec, s[36:37]                                   // 00000000ACB8: BEFE0124
	v_mov_b32_e32 v6, v46                                      // 00000000ACBC: 7E0C032E
	s_mov_b64 s[60:61], 0                                      // 00000000ACC0: BEBC0180
	v_readlane_b32 s82, v3, 4                                  // 00000000ACC4: D2890052 00010903
	s_and_b32 s82, s82, 0xffffff                               // 00000000ACCC: 8652FF52 00FFFFFF
	s_cmp_lt_u32 s82, s66                                      // 00000000ACD4: BF0A4252
	s_cselect_b32 s20, s36, s60                                // 00000000ACD8: 85143C24
	v_readlane_b32 s82, v3, 5                                  // 00000000ACDC: D2890052 00010B03
	s_and_b32 s82, s82, 0xffffff                               // 00000000ACE4: 8652FF52 00FFFFFF
	s_cmp_lt_u32 s82, s66                                      // 00000000ACEC: BF0A4252
	s_cselect_b32 s21, s36, s60                                // 00000000ACF0: 85153C24
	s_mov_b64 exec, s[20:21]                                   // 00000000ACF4: BEFE0114
	buffer_store_dword v64, v6, s[8:11], 0 offen               // 00000000ACF8: E0701000 80024006
	buffer_store_dword v66, v6, s[8:11], 0 offen offset:128    // 00000000AD00: E0701080 80024206
	buffer_store_dword v68, v6, s[8:11], 0 offen offset:256    // 00000000AD08: E0701100 80024406
	buffer_store_dword v70, v6, s[8:11], 0 offen offset:384    // 00000000AD10: E0701180 80024606
	s_mov_b64 exec, s[36:37]                                   // 00000000AD18: BEFE0124
	v_mov_b32_e32 v6, v47                                      // 00000000AD1C: 7E0C032F
	s_mov_b64 s[60:61], 0                                      // 00000000AD20: BEBC0180
	v_readlane_b32 s82, v3, 6                                  // 00000000AD24: D2890052 00010D03
	s_and_b32 s82, s82, 0xffffff                               // 00000000AD2C: 8652FF52 00FFFFFF
	s_cmp_lt_u32 s82, s66                                      // 00000000AD34: BF0A4252
	s_cselect_b32 s20, s36, s60                                // 00000000AD38: 85143C24
	v_readlane_b32 s82, v3, 7                                  // 00000000AD3C: D2890052 00010F03
	s_and_b32 s82, s82, 0xffffff                               // 00000000AD44: 8652FF52 00FFFFFF
	s_cmp_lt_u32 s82, s66                                      // 00000000AD4C: BF0A4252
	s_cselect_b32 s21, s36, s60                                // 00000000AD50: 85153C24
	s_mov_b64 exec, s[20:21]                                   // 00000000AD54: BEFE0114
	buffer_store_dword v65, v6, s[8:11], 0 offen               // 00000000AD58: E0701000 80024106
	buffer_store_dword v67, v6, s[8:11], 0 offen offset:128    // 00000000AD60: E0701080 80024306
	buffer_store_dword v69, v6, s[8:11], 0 offen offset:256    // 00000000AD68: E0701100 80024506
	buffer_store_dword v71, v6, s[8:11], 0 offen offset:384    // 00000000AD70: E0701180 80024706
	s_mov_b64 exec, s[36:37]                                   // 00000000AD78: BEFE0124
	v_mov_b32_e32 v6, v48                                      // 00000000AD7C: 7E0C0330
	s_mov_b64 s[60:61], 0                                      // 00000000AD80: BEBC0180
	v_readlane_b32 s82, v3, 8                                  // 00000000AD84: D2890052 00011103
	s_and_b32 s82, s82, 0xffffff                               // 00000000AD8C: 8652FF52 00FFFFFF
	s_cmp_lt_u32 s82, s66                                      // 00000000AD94: BF0A4252
	s_cselect_b32 s20, s36, s60                                // 00000000AD98: 85143C24
	v_readlane_b32 s82, v3, 9                                  // 00000000AD9C: D2890052 00011303
	s_and_b32 s82, s82, 0xffffff                               // 00000000ADA4: 8652FF52 00FFFFFF
	s_cmp_lt_u32 s82, s66                                      // 00000000ADAC: BF0A4252
	s_cselect_b32 s21, s36, s60                                // 00000000ADB0: 85153C24
	s_mov_b64 exec, s[20:21]                                   // 00000000ADB4: BEFE0114
	buffer_store_dword v72, v6, s[8:11], 0 offen               // 00000000ADB8: E0701000 80024806
	buffer_store_dword v74, v6, s[8:11], 0 offen offset:128    // 00000000ADC0: E0701080 80024A06
	buffer_store_dword v76, v6, s[8:11], 0 offen offset:256    // 00000000ADC8: E0701100 80024C06
	buffer_store_dword v78, v6, s[8:11], 0 offen offset:384    // 00000000ADD0: E0701180 80024E06
	s_mov_b64 exec, s[36:37]                                   // 00000000ADD8: BEFE0124
	v_mov_b32_e32 v6, v49                                      // 00000000ADDC: 7E0C0331
	s_mov_b64 s[60:61], 0                                      // 00000000ADE0: BEBC0180
	v_readlane_b32 s82, v3, 10                                 // 00000000ADE4: D2890052 00011503
	s_and_b32 s82, s82, 0xffffff                               // 00000000ADEC: 8652FF52 00FFFFFF
	s_cmp_lt_u32 s82, s66                                      // 00000000ADF4: BF0A4252
	s_cselect_b32 s20, s36, s60                                // 00000000ADF8: 85143C24
	v_readlane_b32 s82, v3, 11                                 // 00000000ADFC: D2890052 00011703
	s_and_b32 s82, s82, 0xffffff                               // 00000000AE04: 8652FF52 00FFFFFF
	s_cmp_lt_u32 s82, s66                                      // 00000000AE0C: BF0A4252
	s_cselect_b32 s21, s36, s60                                // 00000000AE10: 85153C24
	s_mov_b64 exec, s[20:21]                                   // 00000000AE14: BEFE0114
	buffer_store_dword v73, v6, s[8:11], 0 offen               // 00000000AE18: E0701000 80024906
	buffer_store_dword v75, v6, s[8:11], 0 offen offset:128    // 00000000AE20: E0701080 80024B06
	buffer_store_dword v77, v6, s[8:11], 0 offen offset:256    // 00000000AE28: E0701100 80024D06
	buffer_store_dword v79, v6, s[8:11], 0 offen offset:384    // 00000000AE30: E0701180 80024F06
	s_mov_b64 exec, s[36:37]                                   // 00000000AE38: BEFE0124
	v_mov_b32_e32 v6, v50                                      // 00000000AE3C: 7E0C0332
	s_mov_b64 s[60:61], 0                                      // 00000000AE40: BEBC0180
	v_readlane_b32 s82, v3, 12                                 // 00000000AE44: D2890052 00011903
	s_and_b32 s82, s82, 0xffffff                               // 00000000AE4C: 8652FF52 00FFFFFF
	s_cmp_lt_u32 s82, s66                                      // 00000000AE54: BF0A4252
	s_cselect_b32 s20, s36, s60                                // 00000000AE58: 85143C24
	v_readlane_b32 s82, v3, 13                                 // 00000000AE5C: D2890052 00011B03
	s_and_b32 s82, s82, 0xffffff                               // 00000000AE64: 8652FF52 00FFFFFF
	s_cmp_lt_u32 s82, s66                                      // 00000000AE6C: BF0A4252
	s_cselect_b32 s21, s36, s60                                // 00000000AE70: 85153C24
	s_mov_b64 exec, s[20:21]                                   // 00000000AE74: BEFE0114
	buffer_store_dword v80, v6, s[8:11], 0 offen               // 00000000AE78: E0701000 80025006
	buffer_store_dword v82, v6, s[8:11], 0 offen offset:128    // 00000000AE80: E0701080 80025206
	buffer_store_dword v84, v6, s[8:11], 0 offen offset:256    // 00000000AE88: E0701100 80025406
	buffer_store_dword v86, v6, s[8:11], 0 offen offset:384    // 00000000AE90: E0701180 80025606
	s_mov_b64 exec, s[36:37]                                   // 00000000AE98: BEFE0124
	v_mov_b32_e32 v6, v51                                      // 00000000AE9C: 7E0C0333
	s_mov_b64 s[60:61], 0                                      // 00000000AEA0: BEBC0180
	v_readlane_b32 s82, v3, 14                                 // 00000000AEA4: D2890052 00011D03
	s_and_b32 s82, s82, 0xffffff                               // 00000000AEAC: 8652FF52 00FFFFFF
	s_cmp_lt_u32 s82, s66                                      // 00000000AEB4: BF0A4252
	s_cselect_b32 s20, s36, s60                                // 00000000AEB8: 85143C24
	v_readlane_b32 s82, v3, 15                                 // 00000000AEBC: D2890052 00011F03
	s_and_b32 s82, s82, 0xffffff                               // 00000000AEC4: 8652FF52 00FFFFFF
	s_cmp_lt_u32 s82, s66                                      // 00000000AECC: BF0A4252
	s_cselect_b32 s21, s36, s60                                // 00000000AED0: 85153C24
	s_mov_b64 exec, s[20:21]                                   // 00000000AED4: BEFE0114
	buffer_store_dword v81, v6, s[8:11], 0 offen               // 00000000AED8: E0701000 80025106
	buffer_store_dword v83, v6, s[8:11], 0 offen offset:128    // 00000000AEE0: E0701080 80025306
	buffer_store_dword v85, v6, s[8:11], 0 offen offset:256    // 00000000AEE8: E0701100 80025506
	buffer_store_dword v87, v6, s[8:11], 0 offen offset:384    // 00000000AEF0: E0701180 80025706
	s_mov_b64 exec, s[36:37]                                   // 00000000AEF8: BEFE0124
	s_branch label_269D                                        // 00000000AEFC: BF82055A

000000000000af00 <label_2143>:
	ds_write_b64 v20, v[56:57]                                 // 00000000AF00: D89A0000 00003814
	ds_write_b64 v20, v[60:61] offset:8704                     // 00000000AF08: D89A2200 00003C14
	ds_write_b64 v20, v[64:65] offset:17408                    // 00000000AF10: D89A4400 00004014
	ds_write_b64 v20, v[68:69] offset:26112                    // 00000000AF18: D89A6600 00004414
	ds_write_b64 v20, v[72:73] offset:2176                     // 00000000AF20: D89A0880 00004814
	ds_write_b64 v20, v[76:77] offset:10880                    // 00000000AF28: D89A2A80 00004C14
	ds_write_b64 v20, v[80:81] offset:19584                    // 00000000AF30: D89A4C80 00005014
	ds_write_b64 v20, v[84:85] offset:28288                    // 00000000AF38: D89A6E80 00005414
	ds_write_b64 v20, v[88:89] offset:4352                     // 00000000AF40: D89A1100 00005814
	ds_write_b64 v20, v[92:93] offset:13056                    // 00000000AF48: D89A3300 00005C14
	ds_write_b64 v20, v[96:97] offset:21760                    // 00000000AF50: D89A5500 00006014
	ds_write_b64 v20, v[100:101] offset:30464                  // 00000000AF58: D89A7700 00006414
	ds_write_b64 v20, v[104:105] offset:6528                   // 00000000AF60: D89A1980 00006814
	ds_write_b64 v20, v[108:109] offset:15232                  // 00000000AF68: D89A3B80 00006C14
	ds_write_b64 v20, v[112:113] offset:23936                  // 00000000AF70: D89A5D80 00007014
	ds_write_b64 v20, v[116:117] offset:32640                  // 00000000AF78: D89A7F80 00007414
	v_lshrrev_b32_e32 v4, 5, v0                                // 00000000AF80: 20080085
	v_xor_b32_e32 v5, 1, v4                                    // 00000000AF84: 2A0A0881
	s_mul_i32 s60, s65, 2                                      // 00000000AF88: 923C8241
	s_cmp_eq_u32 s88, 0                                        // 00000000AF8C: BF068058
	s_cselect_b32 s61, 1, 4                                    // 00000000AF90: 853D8481
	s_mul_i32 s60, s61, s60                                    // 00000000AF94: 923C3C3D
	v_readlane_b32 s82, v3, 0                                  // 00000000AF98: D2890052 00010103
	s_lshr_b32 s61, s82, 24                                    // 00000000AFA0: 8F3D9852
	s_and_b32 s82, s82, 0xffffff                               // 00000000AFA4: 8652FF52 00FFFFFF
	s_mul_i32 s82, s82, s71                                    // 00000000AFAC: 92524752
	s_mul_i32 s61, s60, s61                                    // 00000000AFB0: 923D3D3C
	s_add_u32 s82, s82, s61                                    // 00000000AFB4: 80523D52
	v_mul_lo_u32 v6, v5, s82                                   // 00000000AFB8: D2850006 0000A505
	v_readlane_b32 s82, v3, 1                                  // 00000000AFC0: D2890052 00010303
	s_lshr_b32 s61, s82, 24                                    // 00000000AFC8: 8F3D9852
	s_and_b32 s82, s82, 0xffffff                               // 00000000AFCC: 8652FF52 00FFFFFF
	s_mul_i32 s82, s82, s71                                    // 00000000AFD4: 92524752
	s_mul_i32 s61, s60, s61                                    // 00000000AFD8: 923D3D3C
	s_add_u32 s82, s82, s61                                    // 00000000AFDC: 80523D52
	v_mul_lo_u32 v7, v4, s82                                   // 00000000AFE0: D2850007 0000A504
	v_add_u32_e32 v44, v6, v7                                  // 00000000AFE8: 68580F06
	v_readlane_b32 s82, v3, 2                                  // 00000000AFEC: D2890052 00010503
	s_lshr_b32 s61, s82, 24                                    // 00000000AFF4: 8F3D9852
	s_and_b32 s82, s82, 0xffffff                               // 00000000AFF8: 8652FF52 00FFFFFF
	s_mul_i32 s82, s82, s71                                    // 00000000B000: 92524752
	s_mul_i32 s61, s60, s61                                    // 00000000B004: 923D3D3C
	s_add_u32 s82, s82, s61                                    // 00000000B008: 80523D52
	v_mul_lo_u32 v6, v5, s82                                   // 00000000B00C: D2850006 0000A505
	v_readlane_b32 s82, v3, 3                                  // 00000000B014: D2890052 00010703
	s_lshr_b32 s61, s82, 24                                    // 00000000B01C: 8F3D9852
	s_and_b32 s82, s82, 0xffffff                               // 00000000B020: 8652FF52 00FFFFFF
	s_mul_i32 s82, s82, s71                                    // 00000000B028: 92524752
	s_mul_i32 s61, s60, s61                                    // 00000000B02C: 923D3D3C
	s_add_u32 s82, s82, s61                                    // 00000000B030: 80523D52
	v_mul_lo_u32 v7, v4, s82                                   // 00000000B034: D2850007 0000A504
	v_add_u32_e32 v45, v6, v7                                  // 00000000B03C: 685A0F06
	v_readlane_b32 s82, v3, 4                                  // 00000000B040: D2890052 00010903
	s_lshr_b32 s61, s82, 24                                    // 00000000B048: 8F3D9852
	s_and_b32 s82, s82, 0xffffff                               // 00000000B04C: 8652FF52 00FFFFFF
	s_mul_i32 s82, s82, s71                                    // 00000000B054: 92524752
	s_mul_i32 s61, s60, s61                                    // 00000000B058: 923D3D3C
	s_add_u32 s82, s82, s61                                    // 00000000B05C: 80523D52
	v_mul_lo_u32 v6, v5, s82                                   // 00000000B060: D2850006 0000A505
	v_readlane_b32 s82, v3, 5                                  // 00000000B068: D2890052 00010B03
	s_lshr_b32 s61, s82, 24                                    // 00000000B070: 8F3D9852
	s_and_b32 s82, s82, 0xffffff                               // 00000000B074: 8652FF52 00FFFFFF
	s_mul_i32 s82, s82, s71                                    // 00000000B07C: 92524752
	s_mul_i32 s61, s60, s61                                    // 00000000B080: 923D3D3C
	s_add_u32 s82, s82, s61                                    // 00000000B084: 80523D52
	v_mul_lo_u32 v7, v4, s82                                   // 00000000B088: D2850007 0000A504
	v_add_u32_e32 v46, v6, v7                                  // 00000000B090: 685C0F06
	v_readlane_b32 s82, v3, 6                                  // 00000000B094: D2890052 00010D03
	s_lshr_b32 s61, s82, 24                                    // 00000000B09C: 8F3D9852
	s_and_b32 s82, s82, 0xffffff                               // 00000000B0A0: 8652FF52 00FFFFFF
	s_mul_i32 s82, s82, s71                                    // 00000000B0A8: 92524752
	s_mul_i32 s61, s60, s61                                    // 00000000B0AC: 923D3D3C
	s_add_u32 s82, s82, s61                                    // 00000000B0B0: 80523D52
	v_mul_lo_u32 v6, v5, s82                                   // 00000000B0B4: D2850006 0000A505
	v_readlane_b32 s82, v3, 7                                  // 00000000B0BC: D2890052 00010F03
	s_lshr_b32 s61, s82, 24                                    // 00000000B0C4: 8F3D9852
	s_and_b32 s82, s82, 0xffffff                               // 00000000B0C8: 8652FF52 00FFFFFF
	s_mul_i32 s82, s82, s71                                    // 00000000B0D0: 92524752
	s_mul_i32 s61, s60, s61                                    // 00000000B0D4: 923D3D3C
	s_add_u32 s82, s82, s61                                    // 00000000B0D8: 80523D52
	v_mul_lo_u32 v7, v4, s82                                   // 00000000B0DC: D2850007 0000A504
	v_add_u32_e32 v47, v6, v7                                  // 00000000B0E4: 685E0F06
	v_readlane_b32 s82, v3, 8                                  // 00000000B0E8: D2890052 00011103
	s_lshr_b32 s61, s82, 24                                    // 00000000B0F0: 8F3D9852
	s_and_b32 s82, s82, 0xffffff                               // 00000000B0F4: 8652FF52 00FFFFFF
	s_mul_i32 s82, s82, s71                                    // 00000000B0FC: 92524752
	s_mul_i32 s61, s60, s61                                    // 00000000B100: 923D3D3C
	s_add_u32 s82, s82, s61                                    // 00000000B104: 80523D52
	v_mul_lo_u32 v6, v5, s82                                   // 00000000B108: D2850006 0000A505
	v_readlane_b32 s82, v3, 9                                  // 00000000B110: D2890052 00011303
	s_lshr_b32 s61, s82, 24                                    // 00000000B118: 8F3D9852
	s_and_b32 s82, s82, 0xffffff                               // 00000000B11C: 8652FF52 00FFFFFF
	s_mul_i32 s82, s82, s71                                    // 00000000B124: 92524752
	s_mul_i32 s61, s60, s61                                    // 00000000B128: 923D3D3C
	s_add_u32 s82, s82, s61                                    // 00000000B12C: 80523D52
	v_mul_lo_u32 v7, v4, s82                                   // 00000000B130: D2850007 0000A504
	v_add_u32_e32 v48, v6, v7                                  // 00000000B138: 68600F06
	v_readlane_b32 s82, v3, 10                                 // 00000000B13C: D2890052 00011503
	s_lshr_b32 s61, s82, 24                                    // 00000000B144: 8F3D9852
	s_and_b32 s82, s82, 0xffffff                               // 00000000B148: 8652FF52 00FFFFFF
	s_mul_i32 s82, s82, s71                                    // 00000000B150: 92524752
	s_mul_i32 s61, s60, s61                                    // 00000000B154: 923D3D3C
	s_add_u32 s82, s82, s61                                    // 00000000B158: 80523D52
	v_mul_lo_u32 v6, v5, s82                                   // 00000000B15C: D2850006 0000A505
	v_readlane_b32 s82, v3, 11                                 // 00000000B164: D2890052 00011703
	s_lshr_b32 s61, s82, 24                                    // 00000000B16C: 8F3D9852
	s_and_b32 s82, s82, 0xffffff                               // 00000000B170: 8652FF52 00FFFFFF
	s_mul_i32 s82, s82, s71                                    // 00000000B178: 92524752
	s_mul_i32 s61, s60, s61                                    // 00000000B17C: 923D3D3C
	s_add_u32 s82, s82, s61                                    // 00000000B180: 80523D52
	v_mul_lo_u32 v7, v4, s82                                   // 00000000B184: D2850007 0000A504
	v_add_u32_e32 v49, v6, v7                                  // 00000000B18C: 68620F06
	v_readlane_b32 s82, v3, 12                                 // 00000000B190: D2890052 00011903
	s_lshr_b32 s61, s82, 24                                    // 00000000B198: 8F3D9852
	s_and_b32 s82, s82, 0xffffff                               // 00000000B19C: 8652FF52 00FFFFFF
	s_mul_i32 s82, s82, s71                                    // 00000000B1A4: 92524752
	s_mul_i32 s61, s60, s61                                    // 00000000B1A8: 923D3D3C
	s_add_u32 s82, s82, s61                                    // 00000000B1AC: 80523D52
	v_mul_lo_u32 v6, v5, s82                                   // 00000000B1B0: D2850006 0000A505
	v_readlane_b32 s82, v3, 13                                 // 00000000B1B8: D2890052 00011B03
	s_lshr_b32 s61, s82, 24                                    // 00000000B1C0: 8F3D9852
	s_and_b32 s82, s82, 0xffffff                               // 00000000B1C4: 8652FF52 00FFFFFF
	s_mul_i32 s82, s82, s71                                    // 00000000B1CC: 92524752
	s_mul_i32 s61, s60, s61                                    // 00000000B1D0: 923D3D3C
	s_add_u32 s82, s82, s61                                    // 00000000B1D4: 80523D52
	v_mul_lo_u32 v7, v4, s82                                   // 00000000B1D8: D2850007 0000A504
	v_add_u32_e32 v50, v6, v7                                  // 00000000B1E0: 68640F06
	v_readlane_b32 s82, v3, 14                                 // 00000000B1E4: D2890052 00011D03
	s_lshr_b32 s61, s82, 24                                    // 00000000B1EC: 8F3D9852
	s_and_b32 s82, s82, 0xffffff                               // 00000000B1F0: 8652FF52 00FFFFFF
	s_mul_i32 s82, s82, s71                                    // 00000000B1F8: 92524752
	s_mul_i32 s61, s60, s61                                    // 00000000B1FC: 923D3D3C
	s_add_u32 s82, s82, s61                                    // 00000000B200: 80523D52
	v_mul_lo_u32 v6, v5, s82                                   // 00000000B204: D2850006 0000A505
	v_readlane_b32 s82, v3, 15                                 // 00000000B20C: D2890052 00011F03
	s_lshr_b32 s61, s82, 24                                    // 00000000B214: 8F3D9852
	s_and_b32 s82, s82, 0xffffff                               // 00000000B218: 8652FF52 00FFFFFF
	s_mul_i32 s82, s82, s71                                    // 00000000B220: 92524752
	s_mul_i32 s61, s60, s61                                    // 00000000B224: 923D3D3C
	s_add_u32 s82, s82, s61                                    // 00000000B228: 80523D52
	v_mul_lo_u32 v7, v4, s82                                   // 00000000B22C: D2850007 0000A504
	v_add_u32_e32 v51, v6, v7                                  // 00000000B234: 68660F06
	v_and_b32_e32 v4, 31, v0                                   // 00000000B238: 2608009F
	v_lshrrev_b32_e32 v4, 1, v4                                // 00000000B23C: 20080881
	s_cmp_eq_u32 s88, 0                                        // 00000000B240: BF068058
	s_cselect_b32 s61, 2, 4                                    // 00000000B244: 853D8482
	v_mul_lo_u32 v4, v4, s61                                   // 00000000B248: D2850004 00007B04
	v_and_b32_e64 v5, v0, 1                                    // 00000000B250: D1130005 00010300
	v_add_u32_e32 v4, v4, v5                                   // 00000000B258: 68080B04
	v_lshlrev_b32_e32 v4, 2, v4                                // 00000000B25C: 24080882
	v_add_u32_e32 v44, v44, v4                                 // 00000000B260: 6858092C
	v_add_u32_e32 v45, v45, v4                                 // 00000000B264: 685A092D
	v_add_u32_e32 v46, v46, v4                                 // 00000000B268: 685C092E
	v_add_u32_e32 v47, v47, v4                                 // 00000000B26C: 685E092F
	v_add_u32_e32 v48, v48, v4                                 // 00000000B270: 68600930
	v_add_u32_e32 v49, v49, v4                                 // 00000000B274: 68620931
	v_add_u32_e32 v50, v50, v4                                 // 00000000B278: 68640932
	v_add_u32_e32 v51, v51, v4                                 // 00000000B27C: 68660933
	s_waitcnt lgkmcnt(0)                                       // 00000000B280: BF8CC07F
	s_barrier                                                  // 00000000B284: BF8A0000
	ds_read_b32 v56, v21                                       // 00000000B288: D86C0000 38000015
	ds_read_b32 v57, v21 offset:64                             // 00000000B290: D86C0040 39000015
	ds_read_b32 v60, v21 offset:2176                           // 00000000B298: D86C0880 3C000015
	ds_read_b32 v61, v21 offset:2240                           // 00000000B2A0: D86C08C0 3D000015
	ds_read_b32 v64, v21 offset:4352                           // 00000000B2A8: D86C1100 40000015
	ds_read_b32 v65, v21 offset:4416                           // 00000000B2B0: D86C1140 41000015
	ds_read_b32 v68, v21 offset:6528                           // 00000000B2B8: D86C1980 44000015
	ds_read_b32 v69, v21 offset:6592                           // 00000000B2C0: D86C19C0 45000015
	ds_read_b32 v72, v21 offset:8704                           // 00000000B2C8: D86C2200 48000015
	ds_read_b32 v73, v21 offset:8768                           // 00000000B2D0: D86C2240 49000015
	ds_read_b32 v76, v21 offset:10880                          // 00000000B2D8: D86C2A80 4C000015
	ds_read_b32 v77, v21 offset:10944                          // 00000000B2E0: D86C2AC0 4D000015
	ds_read_b32 v80, v21 offset:13056                          // 00000000B2E8: D86C3300 50000015
	ds_read_b32 v81, v21 offset:13120                          // 00000000B2F0: D86C3340 51000015
	ds_read_b32 v84, v21 offset:15232                          // 00000000B2F8: D86C3B80 54000015
	ds_read_b32 v85, v21 offset:15296                          // 00000000B300: D86C3BC0 55000015
	ds_read_b32 v88, v21 offset:17408                          // 00000000B308: D86C4400 58000015
	ds_read_b32 v89, v21 offset:17472                          // 00000000B310: D86C4440 59000015
	ds_read_b32 v92, v21 offset:19584                          // 00000000B318: D86C4C80 5C000015
	ds_read_b32 v93, v21 offset:19648                          // 00000000B320: D86C4CC0 5D000015
	ds_read_b32 v96, v21 offset:21760                          // 00000000B328: D86C5500 60000015
	ds_read_b32 v97, v21 offset:21824                          // 00000000B330: D86C5540 61000015
	ds_read_b32 v100, v21 offset:23936                         // 00000000B338: D86C5D80 64000015
	ds_read_b32 v101, v21 offset:24000                         // 00000000B340: D86C5DC0 65000015
	ds_read_b32 v104, v21 offset:26112                         // 00000000B348: D86C6600 68000015
	ds_read_b32 v105, v21 offset:26176                         // 00000000B350: D86C6640 69000015
	ds_read_b32 v108, v21 offset:28288                         // 00000000B358: D86C6E80 6C000015
	ds_read_b32 v109, v21 offset:28352                         // 00000000B360: D86C6EC0 6D000015
	ds_read_b32 v112, v21 offset:30464                         // 00000000B368: D86C7700 70000015
	ds_read_b32 v113, v21 offset:30528                         // 00000000B370: D86C7740 71000015
	ds_read_b32 v116, v21 offset:32640                         // 00000000B378: D86C7F80 74000015
	ds_read_b32 v117, v21 offset:32704                         // 00000000B380: D86C7FC0 75000015
	s_waitcnt lgkmcnt(0)                                       // 00000000B388: BF8CC07F
	s_mov_b32 s36, -1                                          // 00000000B38C: BEA400C1
	s_mov_b32 s37, -1                                          // 00000000B390: BEA500C1
	v_mov_b32_e32 v7, 0                                        // 00000000B394: 7E0E0280
	s_mov_b64 exec, s[36:37]                                   // 00000000B398: BEFE0124
	v_mov_b32_e32 v6, v44                                      // 00000000B39C: 7E0C032C
	s_mov_b64 s[60:61], 0                                      // 00000000B3A0: BEBC0180
	v_readlane_b32 s82, v3, 0                                  // 00000000B3A4: D2890052 00010103
	s_and_b32 s82, s82, 0xffffff                               // 00000000B3AC: 8652FF52 00FFFFFF
	s_cmp_lt_u32 s82, s66                                      // 00000000B3B4: BF0A4252
	s_cselect_b32 s20, s36, s60                                // 00000000B3B8: 85143C24
	v_readlane_b32 s82, v3, 1                                  // 00000000B3BC: D2890052 00010303
	s_and_b32 s82, s82, 0xffffff                               // 00000000B3C4: 8652FF52 00FFFFFF
	s_cmp_lt_u32 s82, s66                                      // 00000000B3CC: BF0A4252
	s_cselect_b32 s21, s36, s60                                // 00000000B3D0: 85153C24
	s_mov_b64 exec, s[20:21]                                   // 00000000B3D4: BEFE0114
	global_atomic_add_f32 v6, v56, s[8:9]                      // 00000000B3D8: DD348000 00083806
	global_atomic_add_f32 v6, v60, s[8:9] offset:256           // 00000000B3E0: DD348100 00083C06
	global_atomic_add_f32 v6, v64, s[8:9] offset:512           // 00000000B3E8: DD348200 00084006
	global_atomic_add_f32 v6, v68, s[8:9] offset:768           // 00000000B3F0: DD348300 00084406
	s_mov_b64 exec, s[36:37]                                   // 00000000B3F8: BEFE0124
	v_mov_b32_e32 v6, v45                                      // 00000000B3FC: 7E0C032D
	s_mov_b64 s[60:61], 0                                      // 00000000B400: BEBC0180
	v_readlane_b32 s82, v3, 2                                  // 00000000B404: D2890052 00010503
	s_and_b32 s82, s82, 0xffffff                               // 00000000B40C: 8652FF52 00FFFFFF
	s_cmp_lt_u32 s82, s66                                      // 00000000B414: BF0A4252
	s_cselect_b32 s20, s36, s60                                // 00000000B418: 85143C24
	v_readlane_b32 s82, v3, 3                                  // 00000000B41C: D2890052 00010703
	s_and_b32 s82, s82, 0xffffff                               // 00000000B424: 8652FF52 00FFFFFF
	s_cmp_lt_u32 s82, s66                                      // 00000000B42C: BF0A4252
	s_cselect_b32 s21, s36, s60                                // 00000000B430: 85153C24
	s_mov_b64 exec, s[20:21]                                   // 00000000B434: BEFE0114
	global_atomic_add_f32 v6, v57, s[8:9]                      // 00000000B438: DD348000 00083906
	global_atomic_add_f32 v6, v61, s[8:9] offset:256           // 00000000B440: DD348100 00083D06
	global_atomic_add_f32 v6, v65, s[8:9] offset:512           // 00000000B448: DD348200 00084106
	global_atomic_add_f32 v6, v69, s[8:9] offset:768           // 00000000B450: DD348300 00084506
	s_mov_b64 exec, s[36:37]                                   // 00000000B458: BEFE0124
	v_mov_b32_e32 v6, v46                                      // 00000000B45C: 7E0C032E
	s_mov_b64 s[60:61], 0                                      // 00000000B460: BEBC0180
	v_readlane_b32 s82, v3, 4                                  // 00000000B464: D2890052 00010903
	s_and_b32 s82, s82, 0xffffff                               // 00000000B46C: 8652FF52 00FFFFFF
	s_cmp_lt_u32 s82, s66                                      // 00000000B474: BF0A4252
	s_cselect_b32 s20, s36, s60                                // 00000000B478: 85143C24
	v_readlane_b32 s82, v3, 5                                  // 00000000B47C: D2890052 00010B03
	s_and_b32 s82, s82, 0xffffff                               // 00000000B484: 8652FF52 00FFFFFF
	s_cmp_lt_u32 s82, s66                                      // 00000000B48C: BF0A4252
	s_cselect_b32 s21, s36, s60                                // 00000000B490: 85153C24
	s_mov_b64 exec, s[20:21]                                   // 00000000B494: BEFE0114
	global_atomic_add_f32 v6, v72, s[8:9]                      // 00000000B498: DD348000 00084806
	global_atomic_add_f32 v6, v76, s[8:9] offset:256           // 00000000B4A0: DD348100 00084C06
	global_atomic_add_f32 v6, v80, s[8:9] offset:512           // 00000000B4A8: DD348200 00085006
	global_atomic_add_f32 v6, v84, s[8:9] offset:768           // 00000000B4B0: DD348300 00085406
	s_mov_b64 exec, s[36:37]                                   // 00000000B4B8: BEFE0124
	v_mov_b32_e32 v6, v47                                      // 00000000B4BC: 7E0C032F
	s_mov_b64 s[60:61], 0                                      // 00000000B4C0: BEBC0180
	v_readlane_b32 s82, v3, 6                                  // 00000000B4C4: D2890052 00010D03
	s_and_b32 s82, s82, 0xffffff                               // 00000000B4CC: 8652FF52 00FFFFFF
	s_cmp_lt_u32 s82, s66                                      // 00000000B4D4: BF0A4252
	s_cselect_b32 s20, s36, s60                                // 00000000B4D8: 85143C24
	v_readlane_b32 s82, v3, 7                                  // 00000000B4DC: D2890052 00010F03
	s_and_b32 s82, s82, 0xffffff                               // 00000000B4E4: 8652FF52 00FFFFFF
	s_cmp_lt_u32 s82, s66                                      // 00000000B4EC: BF0A4252
	s_cselect_b32 s21, s36, s60                                // 00000000B4F0: 85153C24
	s_mov_b64 exec, s[20:21]                                   // 00000000B4F4: BEFE0114
	global_atomic_add_f32 v6, v73, s[8:9]                      // 00000000B4F8: DD348000 00084906
	global_atomic_add_f32 v6, v77, s[8:9] offset:256           // 00000000B500: DD348100 00084D06
	global_atomic_add_f32 v6, v81, s[8:9] offset:512           // 00000000B508: DD348200 00085106
	global_atomic_add_f32 v6, v85, s[8:9] offset:768           // 00000000B510: DD348300 00085506
	s_mov_b64 exec, s[36:37]                                   // 00000000B518: BEFE0124
	v_mov_b32_e32 v6, v48                                      // 00000000B51C: 7E0C0330
	s_mov_b64 s[60:61], 0                                      // 00000000B520: BEBC0180
	v_readlane_b32 s82, v3, 8                                  // 00000000B524: D2890052 00011103
	s_and_b32 s82, s82, 0xffffff                               // 00000000B52C: 8652FF52 00FFFFFF
	s_cmp_lt_u32 s82, s66                                      // 00000000B534: BF0A4252
	s_cselect_b32 s20, s36, s60                                // 00000000B538: 85143C24
	v_readlane_b32 s82, v3, 9                                  // 00000000B53C: D2890052 00011303
	s_and_b32 s82, s82, 0xffffff                               // 00000000B544: 8652FF52 00FFFFFF
	s_cmp_lt_u32 s82, s66                                      // 00000000B54C: BF0A4252
	s_cselect_b32 s21, s36, s60                                // 00000000B550: 85153C24
	s_mov_b64 exec, s[20:21]                                   // 00000000B554: BEFE0114
	global_atomic_add_f32 v6, v88, s[8:9]                      // 00000000B558: DD348000 00085806
	global_atomic_add_f32 v6, v92, s[8:9] offset:256           // 00000000B560: DD348100 00085C06
	global_atomic_add_f32 v6, v96, s[8:9] offset:512           // 00000000B568: DD348200 00086006
	global_atomic_add_f32 v6, v100, s[8:9] offset:768          // 00000000B570: DD348300 00086406
	s_mov_b64 exec, s[36:37]                                   // 00000000B578: BEFE0124
	v_mov_b32_e32 v6, v49                                      // 00000000B57C: 7E0C0331
	s_mov_b64 s[60:61], 0                                      // 00000000B580: BEBC0180
	v_readlane_b32 s82, v3, 10                                 // 00000000B584: D2890052 00011503
	s_and_b32 s82, s82, 0xffffff                               // 00000000B58C: 8652FF52 00FFFFFF
	s_cmp_lt_u32 s82, s66                                      // 00000000B594: BF0A4252
	s_cselect_b32 s20, s36, s60                                // 00000000B598: 85143C24
	v_readlane_b32 s82, v3, 11                                 // 00000000B59C: D2890052 00011703
	s_and_b32 s82, s82, 0xffffff                               // 00000000B5A4: 8652FF52 00FFFFFF
	s_cmp_lt_u32 s82, s66                                      // 00000000B5AC: BF0A4252
	s_cselect_b32 s21, s36, s60                                // 00000000B5B0: 85153C24
	s_mov_b64 exec, s[20:21]                                   // 00000000B5B4: BEFE0114
	global_atomic_add_f32 v6, v89, s[8:9]                      // 00000000B5B8: DD348000 00085906
	global_atomic_add_f32 v6, v93, s[8:9] offset:256           // 00000000B5C0: DD348100 00085D06
	global_atomic_add_f32 v6, v97, s[8:9] offset:512           // 00000000B5C8: DD348200 00086106
	global_atomic_add_f32 v6, v101, s[8:9] offset:768          // 00000000B5D0: DD348300 00086506
	s_mov_b64 exec, s[36:37]                                   // 00000000B5D8: BEFE0124
	v_mov_b32_e32 v6, v50                                      // 00000000B5DC: 7E0C0332
	s_mov_b64 s[60:61], 0                                      // 00000000B5E0: BEBC0180
	v_readlane_b32 s82, v3, 12                                 // 00000000B5E4: D2890052 00011903
	s_and_b32 s82, s82, 0xffffff                               // 00000000B5EC: 8652FF52 00FFFFFF
	s_cmp_lt_u32 s82, s66                                      // 00000000B5F4: BF0A4252
	s_cselect_b32 s20, s36, s60                                // 00000000B5F8: 85143C24
	v_readlane_b32 s82, v3, 13                                 // 00000000B5FC: D2890052 00011B03
	s_and_b32 s82, s82, 0xffffff                               // 00000000B604: 8652FF52 00FFFFFF
	s_cmp_lt_u32 s82, s66                                      // 00000000B60C: BF0A4252
	s_cselect_b32 s21, s36, s60                                // 00000000B610: 85153C24
	s_mov_b64 exec, s[20:21]                                   // 00000000B614: BEFE0114
	global_atomic_add_f32 v6, v104, s[8:9]                     // 00000000B618: DD348000 00086806
	global_atomic_add_f32 v6, v108, s[8:9] offset:256          // 00000000B620: DD348100 00086C06
	global_atomic_add_f32 v6, v112, s[8:9] offset:512          // 00000000B628: DD348200 00087006
	global_atomic_add_f32 v6, v116, s[8:9] offset:768          // 00000000B630: DD348300 00087406
	s_mov_b64 exec, s[36:37]                                   // 00000000B638: BEFE0124
	v_mov_b32_e32 v6, v51                                      // 00000000B63C: 7E0C0333
	s_mov_b64 s[60:61], 0                                      // 00000000B640: BEBC0180
	v_readlane_b32 s82, v3, 14                                 // 00000000B644: D2890052 00011D03
	s_and_b32 s82, s82, 0xffffff                               // 00000000B64C: 8652FF52 00FFFFFF
	s_cmp_lt_u32 s82, s66                                      // 00000000B654: BF0A4252
	s_cselect_b32 s20, s36, s60                                // 00000000B658: 85143C24
	v_readlane_b32 s82, v3, 15                                 // 00000000B65C: D2890052 00011F03
	s_and_b32 s82, s82, 0xffffff                               // 00000000B664: 8652FF52 00FFFFFF
	s_cmp_lt_u32 s82, s66                                      // 00000000B66C: BF0A4252
	s_cselect_b32 s21, s36, s60                                // 00000000B670: 85153C24
	s_mov_b64 exec, s[20:21]                                   // 00000000B674: BEFE0114
	global_atomic_add_f32 v6, v105, s[8:9]                     // 00000000B678: DD348000 00086906
	global_atomic_add_f32 v6, v109, s[8:9] offset:256          // 00000000B680: DD348100 00086D06
	global_atomic_add_f32 v6, v113, s[8:9] offset:512          // 00000000B688: DD348200 00087106
	global_atomic_add_f32 v6, v117, s[8:9] offset:768          // 00000000B690: DD348300 00087506
	s_mov_b64 exec, s[36:37]                                   // 00000000B698: BEFE0124
	ds_write_b64 v20, v[58:59]                                 // 00000000B69C: D89A0000 00003A14
	ds_write_b64 v20, v[62:63] offset:8704                     // 00000000B6A4: D89A2200 00003E14
	ds_write_b64 v20, v[66:67] offset:17408                    // 00000000B6AC: D89A4400 00004214
	ds_write_b64 v20, v[70:71] offset:26112                    // 00000000B6B4: D89A6600 00004614
	ds_write_b64 v20, v[74:75] offset:2176                     // 00000000B6BC: D89A0880 00004A14
	ds_write_b64 v20, v[78:79] offset:10880                    // 00000000B6C4: D89A2A80 00004E14
	ds_write_b64 v20, v[82:83] offset:19584                    // 00000000B6CC: D89A4C80 00005214
	ds_write_b64 v20, v[86:87] offset:28288                    // 00000000B6D4: D89A6E80 00005614
	ds_write_b64 v20, v[90:91] offset:4352                     // 00000000B6DC: D89A1100 00005A14
	ds_write_b64 v20, v[94:95] offset:13056                    // 00000000B6E4: D89A3300 00005E14
	ds_write_b64 v20, v[98:99] offset:21760                    // 00000000B6EC: D89A5500 00006214
	ds_write_b64 v20, v[102:103] offset:30464                  // 00000000B6F4: D89A7700 00006614
	ds_write_b64 v20, v[106:107] offset:6528                   // 00000000B6FC: D89A1980 00006A14
	ds_write_b64 v20, v[110:111] offset:15232                  // 00000000B704: D89A3B80 00006E14
	ds_write_b64 v20, v[114:115] offset:23936                  // 00000000B70C: D89A5D80 00007214
	ds_write_b64 v20, v[118:119] offset:32640                  // 00000000B714: D89A7F80 00007614
	s_waitcnt lgkmcnt(0)                                       // 00000000B71C: BF8CC07F
	s_barrier                                                  // 00000000B720: BF8A0000
	ds_read_b32 v58, v21                                       // 00000000B724: D86C0000 3A000015
	ds_read_b32 v59, v21 offset:64                             // 00000000B72C: D86C0040 3B000015
	ds_read_b32 v62, v21 offset:2176                           // 00000000B734: D86C0880 3E000015
	ds_read_b32 v63, v21 offset:2240                           // 00000000B73C: D86C08C0 3F000015
	ds_read_b32 v66, v21 offset:4352                           // 00000000B744: D86C1100 42000015
	ds_read_b32 v67, v21 offset:4416                           // 00000000B74C: D86C1140 43000015
	ds_read_b32 v70, v21 offset:6528                           // 00000000B754: D86C1980 46000015
	ds_read_b32 v71, v21 offset:6592                           // 00000000B75C: D86C19C0 47000015
	ds_read_b32 v74, v21 offset:8704                           // 00000000B764: D86C2200 4A000015
	ds_read_b32 v75, v21 offset:8768                           // 00000000B76C: D86C2240 4B000015
	ds_read_b32 v78, v21 offset:10880                          // 00000000B774: D86C2A80 4E000015
	ds_read_b32 v79, v21 offset:10944                          // 00000000B77C: D86C2AC0 4F000015
	ds_read_b32 v82, v21 offset:13056                          // 00000000B784: D86C3300 52000015
	ds_read_b32 v83, v21 offset:13120                          // 00000000B78C: D86C3340 53000015
	ds_read_b32 v86, v21 offset:15232                          // 00000000B794: D86C3B80 56000015
	ds_read_b32 v87, v21 offset:15296                          // 00000000B79C: D86C3BC0 57000015
	ds_read_b32 v90, v21 offset:17408                          // 00000000B7A4: D86C4400 5A000015
	ds_read_b32 v91, v21 offset:17472                          // 00000000B7AC: D86C4440 5B000015
	ds_read_b32 v94, v21 offset:19584                          // 00000000B7B4: D86C4C80 5E000015
	ds_read_b32 v95, v21 offset:19648                          // 00000000B7BC: D86C4CC0 5F000015
	ds_read_b32 v98, v21 offset:21760                          // 00000000B7C4: D86C5500 62000015
	ds_read_b32 v99, v21 offset:21824                          // 00000000B7CC: D86C5540 63000015
	ds_read_b32 v102, v21 offset:23936                         // 00000000B7D4: D86C5D80 66000015
	ds_read_b32 v103, v21 offset:24000                         // 00000000B7DC: D86C5DC0 67000015
	ds_read_b32 v106, v21 offset:26112                         // 00000000B7E4: D86C6600 6A000015
	ds_read_b32 v107, v21 offset:26176                         // 00000000B7EC: D86C6640 6B000015
	ds_read_b32 v110, v21 offset:28288                         // 00000000B7F4: D86C6E80 6E000015
	ds_read_b32 v111, v21 offset:28352                         // 00000000B7FC: D86C6EC0 6F000015
	ds_read_b32 v114, v21 offset:30464                         // 00000000B804: D86C7700 72000015
	ds_read_b32 v115, v21 offset:30528                         // 00000000B80C: D86C7740 73000015
	ds_read_b32 v118, v21 offset:32640                         // 00000000B814: D86C7F80 76000015
	ds_read_b32 v119, v21 offset:32704                         // 00000000B81C: D86C7FC0 77000015
	s_waitcnt lgkmcnt(0)                                       // 00000000B824: BF8CC07F
	v_mov_b32_e32 v7, 0                                        // 00000000B828: 7E0E0280
	s_mov_b64 exec, s[36:37]                                   // 00000000B82C: BEFE0124
	v_mov_b32_e32 v6, v44                                      // 00000000B830: 7E0C032C
	s_mov_b64 s[60:61], 0                                      // 00000000B834: BEBC0180
	v_readlane_b32 s82, v3, 0                                  // 00000000B838: D2890052 00010103
	s_and_b32 s82, s82, 0xffffff                               // 00000000B840: 8652FF52 00FFFFFF
	s_cmp_lt_u32 s82, s66                                      // 00000000B848: BF0A4252
	s_cselect_b32 s20, s36, s60                                // 00000000B84C: 85143C24
	v_readlane_b32 s82, v3, 1                                  // 00000000B850: D2890052 00010303
	s_and_b32 s82, s82, 0xffffff                               // 00000000B858: 8652FF52 00FFFFFF
	s_cmp_lt_u32 s82, s66                                      // 00000000B860: BF0A4252
	s_cselect_b32 s21, s36, s60                                // 00000000B864: 85153C24
	s_mov_b64 exec, s[20:21]                                   // 00000000B868: BEFE0114
	global_atomic_add_f32 v6, v58, s[8:9] offset:8             // 00000000B86C: DD348008 00083A06
	global_atomic_add_f32 v6, v62, s[8:9] offset:264           // 00000000B874: DD348108 00083E06
	global_atomic_add_f32 v6, v66, s[8:9] offset:520           // 00000000B87C: DD348208 00084206
	global_atomic_add_f32 v6, v70, s[8:9] offset:776           // 00000000B884: DD348308 00084606
	s_mov_b64 exec, s[36:37]                                   // 00000000B88C: BEFE0124
	v_mov_b32_e32 v6, v45                                      // 00000000B890: 7E0C032D
	s_mov_b64 s[60:61], 0                                      // 00000000B894: BEBC0180
	v_readlane_b32 s82, v3, 2                                  // 00000000B898: D2890052 00010503
	s_and_b32 s82, s82, 0xffffff                               // 00000000B8A0: 8652FF52 00FFFFFF
	s_cmp_lt_u32 s82, s66                                      // 00000000B8A8: BF0A4252
	s_cselect_b32 s20, s36, s60                                // 00000000B8AC: 85143C24
	v_readlane_b32 s82, v3, 3                                  // 00000000B8B0: D2890052 00010703
	s_and_b32 s82, s82, 0xffffff                               // 00000000B8B8: 8652FF52 00FFFFFF
	s_cmp_lt_u32 s82, s66                                      // 00000000B8C0: BF0A4252
	s_cselect_b32 s21, s36, s60                                // 00000000B8C4: 85153C24
	s_mov_b64 exec, s[20:21]                                   // 00000000B8C8: BEFE0114
	global_atomic_add_f32 v6, v59, s[8:9] offset:8             // 00000000B8CC: DD348008 00083B06
	global_atomic_add_f32 v6, v63, s[8:9] offset:264           // 00000000B8D4: DD348108 00083F06
	global_atomic_add_f32 v6, v67, s[8:9] offset:520           // 00000000B8DC: DD348208 00084306
	global_atomic_add_f32 v6, v71, s[8:9] offset:776           // 00000000B8E4: DD348308 00084706
	s_mov_b64 exec, s[36:37]                                   // 00000000B8EC: BEFE0124
	v_mov_b32_e32 v6, v46                                      // 00000000B8F0: 7E0C032E
	s_mov_b64 s[60:61], 0                                      // 00000000B8F4: BEBC0180
	v_readlane_b32 s82, v3, 4                                  // 00000000B8F8: D2890052 00010903
	s_and_b32 s82, s82, 0xffffff                               // 00000000B900: 8652FF52 00FFFFFF
	s_cmp_lt_u32 s82, s66                                      // 00000000B908: BF0A4252
	s_cselect_b32 s20, s36, s60                                // 00000000B90C: 85143C24
	v_readlane_b32 s82, v3, 5                                  // 00000000B910: D2890052 00010B03
	s_and_b32 s82, s82, 0xffffff                               // 00000000B918: 8652FF52 00FFFFFF
	s_cmp_lt_u32 s82, s66                                      // 00000000B920: BF0A4252
	s_cselect_b32 s21, s36, s60                                // 00000000B924: 85153C24
	s_mov_b64 exec, s[20:21]                                   // 00000000B928: BEFE0114
	global_atomic_add_f32 v6, v74, s[8:9] offset:8             // 00000000B92C: DD348008 00084A06
	global_atomic_add_f32 v6, v78, s[8:9] offset:264           // 00000000B934: DD348108 00084E06
	global_atomic_add_f32 v6, v82, s[8:9] offset:520           // 00000000B93C: DD348208 00085206
	global_atomic_add_f32 v6, v86, s[8:9] offset:776           // 00000000B944: DD348308 00085606
	s_mov_b64 exec, s[36:37]                                   // 00000000B94C: BEFE0124
	v_mov_b32_e32 v6, v47                                      // 00000000B950: 7E0C032F
	s_mov_b64 s[60:61], 0                                      // 00000000B954: BEBC0180
	v_readlane_b32 s82, v3, 6                                  // 00000000B958: D2890052 00010D03
	s_and_b32 s82, s82, 0xffffff                               // 00000000B960: 8652FF52 00FFFFFF
	s_cmp_lt_u32 s82, s66                                      // 00000000B968: BF0A4252
	s_cselect_b32 s20, s36, s60                                // 00000000B96C: 85143C24
	v_readlane_b32 s82, v3, 7                                  // 00000000B970: D2890052 00010F03
	s_and_b32 s82, s82, 0xffffff                               // 00000000B978: 8652FF52 00FFFFFF
	s_cmp_lt_u32 s82, s66                                      // 00000000B980: BF0A4252
	s_cselect_b32 s21, s36, s60                                // 00000000B984: 85153C24
	s_mov_b64 exec, s[20:21]                                   // 00000000B988: BEFE0114
	global_atomic_add_f32 v6, v75, s[8:9] offset:8             // 00000000B98C: DD348008 00084B06
	global_atomic_add_f32 v6, v79, s[8:9] offset:264           // 00000000B994: DD348108 00084F06
	global_atomic_add_f32 v6, v83, s[8:9] offset:520           // 00000000B99C: DD348208 00085306
	global_atomic_add_f32 v6, v87, s[8:9] offset:776           // 00000000B9A4: DD348308 00085706
	s_mov_b64 exec, s[36:37]                                   // 00000000B9AC: BEFE0124
	v_mov_b32_e32 v6, v48                                      // 00000000B9B0: 7E0C0330
	s_mov_b64 s[60:61], 0                                      // 00000000B9B4: BEBC0180
	v_readlane_b32 s82, v3, 8                                  // 00000000B9B8: D2890052 00011103
	s_and_b32 s82, s82, 0xffffff                               // 00000000B9C0: 8652FF52 00FFFFFF
	s_cmp_lt_u32 s82, s66                                      // 00000000B9C8: BF0A4252
	s_cselect_b32 s20, s36, s60                                // 00000000B9CC: 85143C24
	v_readlane_b32 s82, v3, 9                                  // 00000000B9D0: D2890052 00011303
	s_and_b32 s82, s82, 0xffffff                               // 00000000B9D8: 8652FF52 00FFFFFF
	s_cmp_lt_u32 s82, s66                                      // 00000000B9E0: BF0A4252
	s_cselect_b32 s21, s36, s60                                // 00000000B9E4: 85153C24
	s_mov_b64 exec, s[20:21]                                   // 00000000B9E8: BEFE0114
	global_atomic_add_f32 v6, v90, s[8:9] offset:8             // 00000000B9EC: DD348008 00085A06
	global_atomic_add_f32 v6, v94, s[8:9] offset:264           // 00000000B9F4: DD348108 00085E06
	global_atomic_add_f32 v6, v98, s[8:9] offset:520           // 00000000B9FC: DD348208 00086206
	global_atomic_add_f32 v6, v102, s[8:9] offset:776          // 00000000BA04: DD348308 00086606
	s_mov_b64 exec, s[36:37]                                   // 00000000BA0C: BEFE0124
	v_mov_b32_e32 v6, v49                                      // 00000000BA10: 7E0C0331
	s_mov_b64 s[60:61], 0                                      // 00000000BA14: BEBC0180
	v_readlane_b32 s82, v3, 10                                 // 00000000BA18: D2890052 00011503
	s_and_b32 s82, s82, 0xffffff                               // 00000000BA20: 8652FF52 00FFFFFF
	s_cmp_lt_u32 s82, s66                                      // 00000000BA28: BF0A4252
	s_cselect_b32 s20, s36, s60                                // 00000000BA2C: 85143C24
	v_readlane_b32 s82, v3, 11                                 // 00000000BA30: D2890052 00011703
	s_and_b32 s82, s82, 0xffffff                               // 00000000BA38: 8652FF52 00FFFFFF
	s_cmp_lt_u32 s82, s66                                      // 00000000BA40: BF0A4252
	s_cselect_b32 s21, s36, s60                                // 00000000BA44: 85153C24
	s_mov_b64 exec, s[20:21]                                   // 00000000BA48: BEFE0114
	global_atomic_add_f32 v6, v91, s[8:9] offset:8             // 00000000BA4C: DD348008 00085B06
	global_atomic_add_f32 v6, v95, s[8:9] offset:264           // 00000000BA54: DD348108 00085F06
	global_atomic_add_f32 v6, v99, s[8:9] offset:520           // 00000000BA5C: DD348208 00086306
	global_atomic_add_f32 v6, v103, s[8:9] offset:776          // 00000000BA64: DD348308 00086706
	s_mov_b64 exec, s[36:37]                                   // 00000000BA6C: BEFE0124
	v_mov_b32_e32 v6, v50                                      // 00000000BA70: 7E0C0332
	s_mov_b64 s[60:61], 0                                      // 00000000BA74: BEBC0180
	v_readlane_b32 s82, v3, 12                                 // 00000000BA78: D2890052 00011903
	s_and_b32 s82, s82, 0xffffff                               // 00000000BA80: 8652FF52 00FFFFFF
	s_cmp_lt_u32 s82, s66                                      // 00000000BA88: BF0A4252
	s_cselect_b32 s20, s36, s60                                // 00000000BA8C: 85143C24
	v_readlane_b32 s82, v3, 13                                 // 00000000BA90: D2890052 00011B03
	s_and_b32 s82, s82, 0xffffff                               // 00000000BA98: 8652FF52 00FFFFFF
	s_cmp_lt_u32 s82, s66                                      // 00000000BAA0: BF0A4252
	s_cselect_b32 s21, s36, s60                                // 00000000BAA4: 85153C24
	s_mov_b64 exec, s[20:21]                                   // 00000000BAA8: BEFE0114
	global_atomic_add_f32 v6, v106, s[8:9] offset:8            // 00000000BAAC: DD348008 00086A06
	global_atomic_add_f32 v6, v110, s[8:9] offset:264          // 00000000BAB4: DD348108 00086E06
	global_atomic_add_f32 v6, v114, s[8:9] offset:520          // 00000000BABC: DD348208 00087206
	global_atomic_add_f32 v6, v118, s[8:9] offset:776          // 00000000BAC4: DD348308 00087606
	s_mov_b64 exec, s[36:37]                                   // 00000000BACC: BEFE0124
	v_mov_b32_e32 v6, v51                                      // 00000000BAD0: 7E0C0333
	s_mov_b64 s[60:61], 0                                      // 00000000BAD4: BEBC0180
	v_readlane_b32 s82, v3, 14                                 // 00000000BAD8: D2890052 00011D03
	s_and_b32 s82, s82, 0xffffff                               // 00000000BAE0: 8652FF52 00FFFFFF
	s_cmp_lt_u32 s82, s66                                      // 00000000BAE8: BF0A4252
	s_cselect_b32 s20, s36, s60                                // 00000000BAEC: 85143C24
	v_readlane_b32 s82, v3, 15                                 // 00000000BAF0: D2890052 00011F03
	s_and_b32 s82, s82, 0xffffff                               // 00000000BAF8: 8652FF52 00FFFFFF
	s_cmp_lt_u32 s82, s66                                      // 00000000BB00: BF0A4252
	s_cselect_b32 s21, s36, s60                                // 00000000BB04: 85153C24
	s_mov_b64 exec, s[20:21]                                   // 00000000BB08: BEFE0114
	global_atomic_add_f32 v6, v107, s[8:9] offset:8            // 00000000BB0C: DD348008 00086B06
	global_atomic_add_f32 v6, v111, s[8:9] offset:264          // 00000000BB14: DD348108 00086F06
	global_atomic_add_f32 v6, v115, s[8:9] offset:520          // 00000000BB1C: DD348208 00087306
	global_atomic_add_f32 v6, v119, s[8:9] offset:776          // 00000000BB24: DD348308 00087706
	s_mov_b64 exec, s[36:37]                                   // 00000000BB2C: BEFE0124
	ds_write_b64 v20, v[120:121]                               // 00000000BB30: D89A0000 00007814
	ds_write_b64 v20, v[124:125] offset:8704                   // 00000000BB38: D89A2200 00007C14
	ds_write_b64 v20, v[128:129] offset:17408                  // 00000000BB40: D89A4400 00008014
	ds_write_b64 v20, v[132:133] offset:26112                  // 00000000BB48: D89A6600 00008414
	ds_write_b64 v20, v[136:137] offset:2176                   // 00000000BB50: D89A0880 00008814
	ds_write_b64 v20, v[140:141] offset:10880                  // 00000000BB58: D89A2A80 00008C14
	ds_write_b64 v20, v[144:145] offset:19584                  // 00000000BB60: D89A4C80 00009014
	ds_write_b64 v20, v[148:149] offset:28288                  // 00000000BB68: D89A6E80 00009414
	ds_write_b64 v20, v[152:153] offset:4352                   // 00000000BB70: D89A1100 00009814
	ds_write_b64 v20, v[156:157] offset:13056                  // 00000000BB78: D89A3300 00009C14
	ds_write_b64 v20, v[160:161] offset:21760                  // 00000000BB80: D89A5500 0000A014
	ds_write_b64 v20, v[164:165] offset:30464                  // 00000000BB88: D89A7700 0000A414
	ds_write_b64 v20, v[168:169] offset:6528                   // 00000000BB90: D89A1980 0000A814
	ds_write_b64 v20, v[172:173] offset:15232                  // 00000000BB98: D89A3B80 0000AC14
	ds_write_b64 v20, v[176:177] offset:23936                  // 00000000BBA0: D89A5D80 0000B014
	ds_write_b64 v20, v[180:181] offset:32640                  // 00000000BBA8: D89A7F80 0000B414
	s_waitcnt lgkmcnt(0)                                       // 00000000BBB0: BF8CC07F
	s_barrier                                                  // 00000000BBB4: BF8A0000
	ds_read_b32 v120, v21                                      // 00000000BBB8: D86C0000 78000015
	ds_read_b32 v121, v21 offset:64                            // 00000000BBC0: D86C0040 79000015
	ds_read_b32 v124, v21 offset:2176                          // 00000000BBC8: D86C0880 7C000015
	ds_read_b32 v125, v21 offset:2240                          // 00000000BBD0: D86C08C0 7D000015
	ds_read_b32 v128, v21 offset:4352                          // 00000000BBD8: D86C1100 80000015
	ds_read_b32 v129, v21 offset:4416                          // 00000000BBE0: D86C1140 81000015
	ds_read_b32 v132, v21 offset:6528                          // 00000000BBE8: D86C1980 84000015
	ds_read_b32 v133, v21 offset:6592                          // 00000000BBF0: D86C19C0 85000015
	ds_read_b32 v136, v21 offset:8704                          // 00000000BBF8: D86C2200 88000015
	ds_read_b32 v137, v21 offset:8768                          // 00000000BC00: D86C2240 89000015
	ds_read_b32 v140, v21 offset:10880                         // 00000000BC08: D86C2A80 8C000015
	ds_read_b32 v141, v21 offset:10944                         // 00000000BC10: D86C2AC0 8D000015
	ds_read_b32 v144, v21 offset:13056                         // 00000000BC18: D86C3300 90000015
	ds_read_b32 v145, v21 offset:13120                         // 00000000BC20: D86C3340 91000015
	ds_read_b32 v148, v21 offset:15232                         // 00000000BC28: D86C3B80 94000015
	ds_read_b32 v149, v21 offset:15296                         // 00000000BC30: D86C3BC0 95000015
	ds_read_b32 v152, v21 offset:17408                         // 00000000BC38: D86C4400 98000015
	ds_read_b32 v153, v21 offset:17472                         // 00000000BC40: D86C4440 99000015
	ds_read_b32 v156, v21 offset:19584                         // 00000000BC48: D86C4C80 9C000015
	ds_read_b32 v157, v21 offset:19648                         // 00000000BC50: D86C4CC0 9D000015
	ds_read_b32 v160, v21 offset:21760                         // 00000000BC58: D86C5500 A0000015
	ds_read_b32 v161, v21 offset:21824                         // 00000000BC60: D86C5540 A1000015
	ds_read_b32 v164, v21 offset:23936                         // 00000000BC68: D86C5D80 A4000015
	ds_read_b32 v165, v21 offset:24000                         // 00000000BC70: D86C5DC0 A5000015
	ds_read_b32 v168, v21 offset:26112                         // 00000000BC78: D86C6600 A8000015
	ds_read_b32 v169, v21 offset:26176                         // 00000000BC80: D86C6640 A9000015
	ds_read_b32 v172, v21 offset:28288                         // 00000000BC88: D86C6E80 AC000015
	ds_read_b32 v173, v21 offset:28352                         // 00000000BC90: D86C6EC0 AD000015
	ds_read_b32 v176, v21 offset:30464                         // 00000000BC98: D86C7700 B0000015
	ds_read_b32 v177, v21 offset:30528                         // 00000000BCA0: D86C7740 B1000015
	ds_read_b32 v180, v21 offset:32640                         // 00000000BCA8: D86C7F80 B4000015
	ds_read_b32 v181, v21 offset:32704                         // 00000000BCB0: D86C7FC0 B5000015
	s_mul_i32 s60, s65, 4                                      // 00000000BCB8: 923C8441
	s_add_u32 s8, s60, s8                                      // 00000000BCBC: 8008083C
	s_addc_u32 s9, 0, s9                                       // 00000000BCC0: 82090980
	s_waitcnt lgkmcnt(0)                                       // 00000000BCC4: BF8CC07F
	v_mov_b32_e32 v7, 0                                        // 00000000BCC8: 7E0E0280
	s_mov_b64 exec, s[36:37]                                   // 00000000BCCC: BEFE0124
	v_mov_b32_e32 v6, v44                                      // 00000000BCD0: 7E0C032C
	s_mov_b64 s[60:61], 0                                      // 00000000BCD4: BEBC0180
	v_readlane_b32 s82, v3, 0                                  // 00000000BCD8: D2890052 00010103
	s_and_b32 s82, s82, 0xffffff                               // 00000000BCE0: 8652FF52 00FFFFFF
	s_cmp_lt_u32 s82, s66                                      // 00000000BCE8: BF0A4252
	s_cselect_b32 s20, s36, s60                                // 00000000BCEC: 85143C24
	v_readlane_b32 s82, v3, 1                                  // 00000000BCF0: D2890052 00010303
	s_and_b32 s82, s82, 0xffffff                               // 00000000BCF8: 8652FF52 00FFFFFF
	s_cmp_lt_u32 s82, s66                                      // 00000000BD00: BF0A4252
	s_cselect_b32 s21, s36, s60                                // 00000000BD04: 85153C24
	s_mov_b64 exec, s[20:21]                                   // 00000000BD08: BEFE0114
	global_atomic_add_f32 v6, v120, s[8:9]                     // 00000000BD0C: DD348000 00087806
	global_atomic_add_f32 v6, v124, s[8:9] offset:256          // 00000000BD14: DD348100 00087C06
	global_atomic_add_f32 v6, v128, s[8:9] offset:512          // 00000000BD1C: DD348200 00088006
	global_atomic_add_f32 v6, v132, s[8:9] offset:768          // 00000000BD24: DD348300 00088406
	s_mov_b64 exec, s[36:37]                                   // 00000000BD2C: BEFE0124
	v_mov_b32_e32 v6, v45                                      // 00000000BD30: 7E0C032D
	s_mov_b64 s[60:61], 0                                      // 00000000BD34: BEBC0180
	v_readlane_b32 s82, v3, 2                                  // 00000000BD38: D2890052 00010503
	s_and_b32 s82, s82, 0xffffff                               // 00000000BD40: 8652FF52 00FFFFFF
	s_cmp_lt_u32 s82, s66                                      // 00000000BD48: BF0A4252
	s_cselect_b32 s20, s36, s60                                // 00000000BD4C: 85143C24
	v_readlane_b32 s82, v3, 3                                  // 00000000BD50: D2890052 00010703
	s_and_b32 s82, s82, 0xffffff                               // 00000000BD58: 8652FF52 00FFFFFF
	s_cmp_lt_u32 s82, s66                                      // 00000000BD60: BF0A4252
	s_cselect_b32 s21, s36, s60                                // 00000000BD64: 85153C24
	s_mov_b64 exec, s[20:21]                                   // 00000000BD68: BEFE0114
	global_atomic_add_f32 v6, v121, s[8:9]                     // 00000000BD6C: DD348000 00087906
	global_atomic_add_f32 v6, v125, s[8:9] offset:256          // 00000000BD74: DD348100 00087D06
	global_atomic_add_f32 v6, v129, s[8:9] offset:512          // 00000000BD7C: DD348200 00088106
	global_atomic_add_f32 v6, v133, s[8:9] offset:768          // 00000000BD84: DD348300 00088506
	s_mov_b64 exec, s[36:37]                                   // 00000000BD8C: BEFE0124
	v_mov_b32_e32 v6, v46                                      // 00000000BD90: 7E0C032E
	s_mov_b64 s[60:61], 0                                      // 00000000BD94: BEBC0180
	v_readlane_b32 s82, v3, 4                                  // 00000000BD98: D2890052 00010903
	s_and_b32 s82, s82, 0xffffff                               // 00000000BDA0: 8652FF52 00FFFFFF
	s_cmp_lt_u32 s82, s66                                      // 00000000BDA8: BF0A4252
	s_cselect_b32 s20, s36, s60                                // 00000000BDAC: 85143C24
	v_readlane_b32 s82, v3, 5                                  // 00000000BDB0: D2890052 00010B03
	s_and_b32 s82, s82, 0xffffff                               // 00000000BDB8: 8652FF52 00FFFFFF
	s_cmp_lt_u32 s82, s66                                      // 00000000BDC0: BF0A4252
	s_cselect_b32 s21, s36, s60                                // 00000000BDC4: 85153C24
	s_mov_b64 exec, s[20:21]                                   // 00000000BDC8: BEFE0114
	global_atomic_add_f32 v6, v136, s[8:9]                     // 00000000BDCC: DD348000 00088806
	global_atomic_add_f32 v6, v140, s[8:9] offset:256          // 00000000BDD4: DD348100 00088C06
	global_atomic_add_f32 v6, v144, s[8:9] offset:512          // 00000000BDDC: DD348200 00089006
	global_atomic_add_f32 v6, v148, s[8:9] offset:768          // 00000000BDE4: DD348300 00089406
	s_mov_b64 exec, s[36:37]                                   // 00000000BDEC: BEFE0124
	v_mov_b32_e32 v6, v47                                      // 00000000BDF0: 7E0C032F
	s_mov_b64 s[60:61], 0                                      // 00000000BDF4: BEBC0180
	v_readlane_b32 s82, v3, 6                                  // 00000000BDF8: D2890052 00010D03
	s_and_b32 s82, s82, 0xffffff                               // 00000000BE00: 8652FF52 00FFFFFF
	s_cmp_lt_u32 s82, s66                                      // 00000000BE08: BF0A4252
	s_cselect_b32 s20, s36, s60                                // 00000000BE0C: 85143C24
	v_readlane_b32 s82, v3, 7                                  // 00000000BE10: D2890052 00010F03
	s_and_b32 s82, s82, 0xffffff                               // 00000000BE18: 8652FF52 00FFFFFF
	s_cmp_lt_u32 s82, s66                                      // 00000000BE20: BF0A4252
	s_cselect_b32 s21, s36, s60                                // 00000000BE24: 85153C24
	s_mov_b64 exec, s[20:21]                                   // 00000000BE28: BEFE0114
	global_atomic_add_f32 v6, v137, s[8:9]                     // 00000000BE2C: DD348000 00088906
	global_atomic_add_f32 v6, v141, s[8:9] offset:256          // 00000000BE34: DD348100 00088D06
	global_atomic_add_f32 v6, v145, s[8:9] offset:512          // 00000000BE3C: DD348200 00089106
	global_atomic_add_f32 v6, v149, s[8:9] offset:768          // 00000000BE44: DD348300 00089506
	s_mov_b64 exec, s[36:37]                                   // 00000000BE4C: BEFE0124
	v_mov_b32_e32 v6, v48                                      // 00000000BE50: 7E0C0330
	s_mov_b64 s[60:61], 0                                      // 00000000BE54: BEBC0180
	v_readlane_b32 s82, v3, 8                                  // 00000000BE58: D2890052 00011103
	s_and_b32 s82, s82, 0xffffff                               // 00000000BE60: 8652FF52 00FFFFFF
	s_cmp_lt_u32 s82, s66                                      // 00000000BE68: BF0A4252
	s_cselect_b32 s20, s36, s60                                // 00000000BE6C: 85143C24
	v_readlane_b32 s82, v3, 9                                  // 00000000BE70: D2890052 00011303
	s_and_b32 s82, s82, 0xffffff                               // 00000000BE78: 8652FF52 00FFFFFF
	s_cmp_lt_u32 s82, s66                                      // 00000000BE80: BF0A4252
	s_cselect_b32 s21, s36, s60                                // 00000000BE84: 85153C24
	s_mov_b64 exec, s[20:21]                                   // 00000000BE88: BEFE0114
	global_atomic_add_f32 v6, v152, s[8:9]                     // 00000000BE8C: DD348000 00089806
	global_atomic_add_f32 v6, v156, s[8:9] offset:256          // 00000000BE94: DD348100 00089C06
	global_atomic_add_f32 v6, v160, s[8:9] offset:512          // 00000000BE9C: DD348200 0008A006
	global_atomic_add_f32 v6, v164, s[8:9] offset:768          // 00000000BEA4: DD348300 0008A406
	s_mov_b64 exec, s[36:37]                                   // 00000000BEAC: BEFE0124
	v_mov_b32_e32 v6, v49                                      // 00000000BEB0: 7E0C0331
	s_mov_b64 s[60:61], 0                                      // 00000000BEB4: BEBC0180
	v_readlane_b32 s82, v3, 10                                 // 00000000BEB8: D2890052 00011503
	s_and_b32 s82, s82, 0xffffff                               // 00000000BEC0: 8652FF52 00FFFFFF
	s_cmp_lt_u32 s82, s66                                      // 00000000BEC8: BF0A4252
	s_cselect_b32 s20, s36, s60                                // 00000000BECC: 85143C24
	v_readlane_b32 s82, v3, 11                                 // 00000000BED0: D2890052 00011703
	s_and_b32 s82, s82, 0xffffff                               // 00000000BED8: 8652FF52 00FFFFFF
	s_cmp_lt_u32 s82, s66                                      // 00000000BEE0: BF0A4252
	s_cselect_b32 s21, s36, s60                                // 00000000BEE4: 85153C24
	s_mov_b64 exec, s[20:21]                                   // 00000000BEE8: BEFE0114
	global_atomic_add_f32 v6, v153, s[8:9]                     // 00000000BEEC: DD348000 00089906
	global_atomic_add_f32 v6, v157, s[8:9] offset:256          // 00000000BEF4: DD348100 00089D06
	global_atomic_add_f32 v6, v161, s[8:9] offset:512          // 00000000BEFC: DD348200 0008A106
	global_atomic_add_f32 v6, v165, s[8:9] offset:768          // 00000000BF04: DD348300 0008A506
	s_mov_b64 exec, s[36:37]                                   // 00000000BF0C: BEFE0124
	v_mov_b32_e32 v6, v50                                      // 00000000BF10: 7E0C0332
	s_mov_b64 s[60:61], 0                                      // 00000000BF14: BEBC0180
	v_readlane_b32 s82, v3, 12                                 // 00000000BF18: D2890052 00011903
	s_and_b32 s82, s82, 0xffffff                               // 00000000BF20: 8652FF52 00FFFFFF
	s_cmp_lt_u32 s82, s66                                      // 00000000BF28: BF0A4252
	s_cselect_b32 s20, s36, s60                                // 00000000BF2C: 85143C24
	v_readlane_b32 s82, v3, 13                                 // 00000000BF30: D2890052 00011B03
	s_and_b32 s82, s82, 0xffffff                               // 00000000BF38: 8652FF52 00FFFFFF
	s_cmp_lt_u32 s82, s66                                      // 00000000BF40: BF0A4252
	s_cselect_b32 s21, s36, s60                                // 00000000BF44: 85153C24
	s_mov_b64 exec, s[20:21]                                   // 00000000BF48: BEFE0114
	global_atomic_add_f32 v6, v168, s[8:9]                     // 00000000BF4C: DD348000 0008A806
	global_atomic_add_f32 v6, v172, s[8:9] offset:256          // 00000000BF54: DD348100 0008AC06
	global_atomic_add_f32 v6, v176, s[8:9] offset:512          // 00000000BF5C: DD348200 0008B006
	global_atomic_add_f32 v6, v180, s[8:9] offset:768          // 00000000BF64: DD348300 0008B406
	s_mov_b64 exec, s[36:37]                                   // 00000000BF6C: BEFE0124
	v_mov_b32_e32 v6, v51                                      // 00000000BF70: 7E0C0333
	s_mov_b64 s[60:61], 0                                      // 00000000BF74: BEBC0180
	v_readlane_b32 s82, v3, 14                                 // 00000000BF78: D2890052 00011D03
	s_and_b32 s82, s82, 0xffffff                               // 00000000BF80: 8652FF52 00FFFFFF
	s_cmp_lt_u32 s82, s66                                      // 00000000BF88: BF0A4252
	s_cselect_b32 s20, s36, s60                                // 00000000BF8C: 85143C24
	v_readlane_b32 s82, v3, 15                                 // 00000000BF90: D2890052 00011F03
	s_and_b32 s82, s82, 0xffffff                               // 00000000BF98: 8652FF52 00FFFFFF
	s_cmp_lt_u32 s82, s66                                      // 00000000BFA0: BF0A4252
	s_cselect_b32 s21, s36, s60                                // 00000000BFA4: 85153C24
	s_mov_b64 exec, s[20:21]                                   // 00000000BFA8: BEFE0114
	global_atomic_add_f32 v6, v169, s[8:9]                     // 00000000BFAC: DD348000 0008A906
	global_atomic_add_f32 v6, v173, s[8:9] offset:256          // 00000000BFB4: DD348100 0008AD06
	global_atomic_add_f32 v6, v177, s[8:9] offset:512          // 00000000BFBC: DD348200 0008B106
	global_atomic_add_f32 v6, v181, s[8:9] offset:768          // 00000000BFC4: DD348300 0008B506
	s_mov_b64 exec, s[36:37]                                   // 00000000BFCC: BEFE0124
	ds_write_b64 v20, v[122:123]                               // 00000000BFD0: D89A0000 00007A14
	ds_write_b64 v20, v[126:127] offset:8704                   // 00000000BFD8: D89A2200 00007E14
	ds_write_b64 v20, v[130:131] offset:17408                  // 00000000BFE0: D89A4400 00008214
	ds_write_b64 v20, v[134:135] offset:26112                  // 00000000BFE8: D89A6600 00008614
	ds_write_b64 v20, v[138:139] offset:2176                   // 00000000BFF0: D89A0880 00008A14
	ds_write_b64 v20, v[142:143] offset:10880                  // 00000000BFF8: D89A2A80 00008E14
	ds_write_b64 v20, v[146:147] offset:19584                  // 00000000C000: D89A4C80 00009214
	ds_write_b64 v20, v[150:151] offset:28288                  // 00000000C008: D89A6E80 00009614
	ds_write_b64 v20, v[154:155] offset:4352                   // 00000000C010: D89A1100 00009A14
	ds_write_b64 v20, v[158:159] offset:13056                  // 00000000C018: D89A3300 00009E14
	ds_write_b64 v20, v[162:163] offset:21760                  // 00000000C020: D89A5500 0000A214
	ds_write_b64 v20, v[166:167] offset:30464                  // 00000000C028: D89A7700 0000A614
	ds_write_b64 v20, v[170:171] offset:6528                   // 00000000C030: D89A1980 0000AA14
	ds_write_b64 v20, v[174:175] offset:15232                  // 00000000C038: D89A3B80 0000AE14
	ds_write_b64 v20, v[178:179] offset:23936                  // 00000000C040: D89A5D80 0000B214
	ds_write_b64 v20, v[182:183] offset:32640                  // 00000000C048: D89A7F80 0000B614
	s_waitcnt lgkmcnt(0)                                       // 00000000C050: BF8CC07F
	s_barrier                                                  // 00000000C054: BF8A0000
	ds_read_b32 v122, v21                                      // 00000000C058: D86C0000 7A000015
	ds_read_b32 v123, v21 offset:64                            // 00000000C060: D86C0040 7B000015
	ds_read_b32 v126, v21 offset:2176                          // 00000000C068: D86C0880 7E000015
	ds_read_b32 v127, v21 offset:2240                          // 00000000C070: D86C08C0 7F000015
	ds_read_b32 v130, v21 offset:4352                          // 00000000C078: D86C1100 82000015
	ds_read_b32 v131, v21 offset:4416                          // 00000000C080: D86C1140 83000015
	ds_read_b32 v134, v21 offset:6528                          // 00000000C088: D86C1980 86000015
	ds_read_b32 v135, v21 offset:6592                          // 00000000C090: D86C19C0 87000015
	ds_read_b32 v138, v21 offset:8704                          // 00000000C098: D86C2200 8A000015
	ds_read_b32 v139, v21 offset:8768                          // 00000000C0A0: D86C2240 8B000015
	ds_read_b32 v142, v21 offset:10880                         // 00000000C0A8: D86C2A80 8E000015
	ds_read_b32 v143, v21 offset:10944                         // 00000000C0B0: D86C2AC0 8F000015
	ds_read_b32 v146, v21 offset:13056                         // 00000000C0B8: D86C3300 92000015
	ds_read_b32 v147, v21 offset:13120                         // 00000000C0C0: D86C3340 93000015
	ds_read_b32 v150, v21 offset:15232                         // 00000000C0C8: D86C3B80 96000015
	ds_read_b32 v151, v21 offset:15296                         // 00000000C0D0: D86C3BC0 97000015
	ds_read_b32 v154, v21 offset:17408                         // 00000000C0D8: D86C4400 9A000015
	ds_read_b32 v155, v21 offset:17472                         // 00000000C0E0: D86C4440 9B000015
	ds_read_b32 v158, v21 offset:19584                         // 00000000C0E8: D86C4C80 9E000015
	ds_read_b32 v159, v21 offset:19648                         // 00000000C0F0: D86C4CC0 9F000015
	ds_read_b32 v162, v21 offset:21760                         // 00000000C0F8: D86C5500 A2000015
	ds_read_b32 v163, v21 offset:21824                         // 00000000C100: D86C5540 A3000015
	ds_read_b32 v166, v21 offset:23936                         // 00000000C108: D86C5D80 A6000015
	ds_read_b32 v167, v21 offset:24000                         // 00000000C110: D86C5DC0 A7000015
	ds_read_b32 v170, v21 offset:26112                         // 00000000C118: D86C6600 AA000015
	ds_read_b32 v171, v21 offset:26176                         // 00000000C120: D86C6640 AB000015
	ds_read_b32 v174, v21 offset:28288                         // 00000000C128: D86C6E80 AE000015
	ds_read_b32 v175, v21 offset:28352                         // 00000000C130: D86C6EC0 AF000015
	ds_read_b32 v178, v21 offset:30464                         // 00000000C138: D86C7700 B2000015
	ds_read_b32 v179, v21 offset:30528                         // 00000000C140: D86C7740 B3000015
	ds_read_b32 v182, v21 offset:32640                         // 00000000C148: D86C7F80 B6000015
	ds_read_b32 v183, v21 offset:32704                         // 00000000C150: D86C7FC0 B7000015
	s_waitcnt lgkmcnt(0)                                       // 00000000C158: BF8CC07F
	v_mov_b32_e32 v7, 0                                        // 00000000C15C: 7E0E0280
	s_mov_b64 exec, s[36:37]                                   // 00000000C160: BEFE0124
	v_mov_b32_e32 v6, v44                                      // 00000000C164: 7E0C032C
	s_mov_b64 s[60:61], 0                                      // 00000000C168: BEBC0180
	v_readlane_b32 s82, v3, 0                                  // 00000000C16C: D2890052 00010103
	s_and_b32 s82, s82, 0xffffff                               // 00000000C174: 8652FF52 00FFFFFF
	s_cmp_lt_u32 s82, s66                                      // 00000000C17C: BF0A4252
	s_cselect_b32 s20, s36, s60                                // 00000000C180: 85143C24
	v_readlane_b32 s82, v3, 1                                  // 00000000C184: D2890052 00010303
	s_and_b32 s82, s82, 0xffffff                               // 00000000C18C: 8652FF52 00FFFFFF
	s_cmp_lt_u32 s82, s66                                      // 00000000C194: BF0A4252
	s_cselect_b32 s21, s36, s60                                // 00000000C198: 85153C24
	s_mov_b64 exec, s[20:21]                                   // 00000000C19C: BEFE0114
	global_atomic_add_f32 v6, v122, s[8:9] offset:8            // 00000000C1A0: DD348008 00087A06
	global_atomic_add_f32 v6, v126, s[8:9] offset:264          // 00000000C1A8: DD348108 00087E06
	global_atomic_add_f32 v6, v130, s[8:9] offset:520          // 00000000C1B0: DD348208 00088206
	global_atomic_add_f32 v6, v134, s[8:9] offset:776          // 00000000C1B8: DD348308 00088606
	s_mov_b64 exec, s[36:37]                                   // 00000000C1C0: BEFE0124
	v_mov_b32_e32 v6, v45                                      // 00000000C1C4: 7E0C032D
	s_mov_b64 s[60:61], 0                                      // 00000000C1C8: BEBC0180
	v_readlane_b32 s82, v3, 2                                  // 00000000C1CC: D2890052 00010503
	s_and_b32 s82, s82, 0xffffff                               // 00000000C1D4: 8652FF52 00FFFFFF
	s_cmp_lt_u32 s82, s66                                      // 00000000C1DC: BF0A4252
	s_cselect_b32 s20, s36, s60                                // 00000000C1E0: 85143C24
	v_readlane_b32 s82, v3, 3                                  // 00000000C1E4: D2890052 00010703
	s_and_b32 s82, s82, 0xffffff                               // 00000000C1EC: 8652FF52 00FFFFFF
	s_cmp_lt_u32 s82, s66                                      // 00000000C1F4: BF0A4252
	s_cselect_b32 s21, s36, s60                                // 00000000C1F8: 85153C24
	s_mov_b64 exec, s[20:21]                                   // 00000000C1FC: BEFE0114
	global_atomic_add_f32 v6, v123, s[8:9] offset:8            // 00000000C200: DD348008 00087B06
	global_atomic_add_f32 v6, v127, s[8:9] offset:264          // 00000000C208: DD348108 00087F06
	global_atomic_add_f32 v6, v131, s[8:9] offset:520          // 00000000C210: DD348208 00088306
	global_atomic_add_f32 v6, v135, s[8:9] offset:776          // 00000000C218: DD348308 00088706
	s_mov_b64 exec, s[36:37]                                   // 00000000C220: BEFE0124
	v_mov_b32_e32 v6, v46                                      // 00000000C224: 7E0C032E
	s_mov_b64 s[60:61], 0                                      // 00000000C228: BEBC0180
	v_readlane_b32 s82, v3, 4                                  // 00000000C22C: D2890052 00010903
	s_and_b32 s82, s82, 0xffffff                               // 00000000C234: 8652FF52 00FFFFFF
	s_cmp_lt_u32 s82, s66                                      // 00000000C23C: BF0A4252
	s_cselect_b32 s20, s36, s60                                // 00000000C240: 85143C24
	v_readlane_b32 s82, v3, 5                                  // 00000000C244: D2890052 00010B03
	s_and_b32 s82, s82, 0xffffff                               // 00000000C24C: 8652FF52 00FFFFFF
	s_cmp_lt_u32 s82, s66                                      // 00000000C254: BF0A4252
	s_cselect_b32 s21, s36, s60                                // 00000000C258: 85153C24
	s_mov_b64 exec, s[20:21]                                   // 00000000C25C: BEFE0114
	global_atomic_add_f32 v6, v138, s[8:9] offset:8            // 00000000C260: DD348008 00088A06
	global_atomic_add_f32 v6, v142, s[8:9] offset:264          // 00000000C268: DD348108 00088E06
	global_atomic_add_f32 v6, v146, s[8:9] offset:520          // 00000000C270: DD348208 00089206
	global_atomic_add_f32 v6, v150, s[8:9] offset:776          // 00000000C278: DD348308 00089606
	s_mov_b64 exec, s[36:37]                                   // 00000000C280: BEFE0124
	v_mov_b32_e32 v6, v47                                      // 00000000C284: 7E0C032F
	s_mov_b64 s[60:61], 0                                      // 00000000C288: BEBC0180
	v_readlane_b32 s82, v3, 6                                  // 00000000C28C: D2890052 00010D03
	s_and_b32 s82, s82, 0xffffff                               // 00000000C294: 8652FF52 00FFFFFF
	s_cmp_lt_u32 s82, s66                                      // 00000000C29C: BF0A4252
	s_cselect_b32 s20, s36, s60                                // 00000000C2A0: 85143C24
	v_readlane_b32 s82, v3, 7                                  // 00000000C2A4: D2890052 00010F03
	s_and_b32 s82, s82, 0xffffff                               // 00000000C2AC: 8652FF52 00FFFFFF
	s_cmp_lt_u32 s82, s66                                      // 00000000C2B4: BF0A4252
	s_cselect_b32 s21, s36, s60                                // 00000000C2B8: 85153C24
	s_mov_b64 exec, s[20:21]                                   // 00000000C2BC: BEFE0114
	global_atomic_add_f32 v6, v139, s[8:9] offset:8            // 00000000C2C0: DD348008 00088B06
	global_atomic_add_f32 v6, v143, s[8:9] offset:264          // 00000000C2C8: DD348108 00088F06
	global_atomic_add_f32 v6, v147, s[8:9] offset:520          // 00000000C2D0: DD348208 00089306
	global_atomic_add_f32 v6, v151, s[8:9] offset:776          // 00000000C2D8: DD348308 00089706
	s_mov_b64 exec, s[36:37]                                   // 00000000C2E0: BEFE0124
	v_mov_b32_e32 v6, v48                                      // 00000000C2E4: 7E0C0330
	s_mov_b64 s[60:61], 0                                      // 00000000C2E8: BEBC0180
	v_readlane_b32 s82, v3, 8                                  // 00000000C2EC: D2890052 00011103
	s_and_b32 s82, s82, 0xffffff                               // 00000000C2F4: 8652FF52 00FFFFFF
	s_cmp_lt_u32 s82, s66                                      // 00000000C2FC: BF0A4252
	s_cselect_b32 s20, s36, s60                                // 00000000C300: 85143C24
	v_readlane_b32 s82, v3, 9                                  // 00000000C304: D2890052 00011303
	s_and_b32 s82, s82, 0xffffff                               // 00000000C30C: 8652FF52 00FFFFFF
	s_cmp_lt_u32 s82, s66                                      // 00000000C314: BF0A4252
	s_cselect_b32 s21, s36, s60                                // 00000000C318: 85153C24
	s_mov_b64 exec, s[20:21]                                   // 00000000C31C: BEFE0114
	global_atomic_add_f32 v6, v154, s[8:9] offset:8            // 00000000C320: DD348008 00089A06
	global_atomic_add_f32 v6, v158, s[8:9] offset:264          // 00000000C328: DD348108 00089E06
	global_atomic_add_f32 v6, v162, s[8:9] offset:520          // 00000000C330: DD348208 0008A206
	global_atomic_add_f32 v6, v166, s[8:9] offset:776          // 00000000C338: DD348308 0008A606
	s_mov_b64 exec, s[36:37]                                   // 00000000C340: BEFE0124
	v_mov_b32_e32 v6, v49                                      // 00000000C344: 7E0C0331
	s_mov_b64 s[60:61], 0                                      // 00000000C348: BEBC0180
	v_readlane_b32 s82, v3, 10                                 // 00000000C34C: D2890052 00011503
	s_and_b32 s82, s82, 0xffffff                               // 00000000C354: 8652FF52 00FFFFFF
	s_cmp_lt_u32 s82, s66                                      // 00000000C35C: BF0A4252
	s_cselect_b32 s20, s36, s60                                // 00000000C360: 85143C24
	v_readlane_b32 s82, v3, 11                                 // 00000000C364: D2890052 00011703
	s_and_b32 s82, s82, 0xffffff                               // 00000000C36C: 8652FF52 00FFFFFF
	s_cmp_lt_u32 s82, s66                                      // 00000000C374: BF0A4252
	s_cselect_b32 s21, s36, s60                                // 00000000C378: 85153C24
	s_mov_b64 exec, s[20:21]                                   // 00000000C37C: BEFE0114
	global_atomic_add_f32 v6, v155, s[8:9] offset:8            // 00000000C380: DD348008 00089B06
	global_atomic_add_f32 v6, v159, s[8:9] offset:264          // 00000000C388: DD348108 00089F06
	global_atomic_add_f32 v6, v163, s[8:9] offset:520          // 00000000C390: DD348208 0008A306
	global_atomic_add_f32 v6, v167, s[8:9] offset:776          // 00000000C398: DD348308 0008A706
	s_mov_b64 exec, s[36:37]                                   // 00000000C3A0: BEFE0124
	v_mov_b32_e32 v6, v50                                      // 00000000C3A4: 7E0C0332
	s_mov_b64 s[60:61], 0                                      // 00000000C3A8: BEBC0180
	v_readlane_b32 s82, v3, 12                                 // 00000000C3AC: D2890052 00011903
	s_and_b32 s82, s82, 0xffffff                               // 00000000C3B4: 8652FF52 00FFFFFF
	s_cmp_lt_u32 s82, s66                                      // 00000000C3BC: BF0A4252
	s_cselect_b32 s20, s36, s60                                // 00000000C3C0: 85143C24
	v_readlane_b32 s82, v3, 13                                 // 00000000C3C4: D2890052 00011B03
	s_and_b32 s82, s82, 0xffffff                               // 00000000C3CC: 8652FF52 00FFFFFF
	s_cmp_lt_u32 s82, s66                                      // 00000000C3D4: BF0A4252
	s_cselect_b32 s21, s36, s60                                // 00000000C3D8: 85153C24
	s_mov_b64 exec, s[20:21]                                   // 00000000C3DC: BEFE0114
	global_atomic_add_f32 v6, v170, s[8:9] offset:8            // 00000000C3E0: DD348008 0008AA06
	global_atomic_add_f32 v6, v174, s[8:9] offset:264          // 00000000C3E8: DD348108 0008AE06
	global_atomic_add_f32 v6, v178, s[8:9] offset:520          // 00000000C3F0: DD348208 0008B206
	global_atomic_add_f32 v6, v182, s[8:9] offset:776          // 00000000C3F8: DD348308 0008B606
	s_mov_b64 exec, s[36:37]                                   // 00000000C400: BEFE0124
	v_mov_b32_e32 v6, v51                                      // 00000000C404: 7E0C0333
	s_mov_b64 s[60:61], 0                                      // 00000000C408: BEBC0180
	v_readlane_b32 s82, v3, 14                                 // 00000000C40C: D2890052 00011D03
	s_and_b32 s82, s82, 0xffffff                               // 00000000C414: 8652FF52 00FFFFFF
	s_cmp_lt_u32 s82, s66                                      // 00000000C41C: BF0A4252
	s_cselect_b32 s20, s36, s60                                // 00000000C420: 85143C24
	v_readlane_b32 s82, v3, 15                                 // 00000000C424: D2890052 00011F03
	s_and_b32 s82, s82, 0xffffff                               // 00000000C42C: 8652FF52 00FFFFFF
	s_cmp_lt_u32 s82, s66                                      // 00000000C434: BF0A4252
	s_cselect_b32 s21, s36, s60                                // 00000000C438: 85153C24
	s_mov_b64 exec, s[20:21]                                   // 00000000C43C: BEFE0114
	global_atomic_add_f32 v6, v171, s[8:9] offset:8            // 00000000C440: DD348008 0008AB06
	global_atomic_add_f32 v6, v175, s[8:9] offset:264          // 00000000C448: DD348108 0008AF06
	global_atomic_add_f32 v6, v179, s[8:9] offset:520          // 00000000C450: DD348208 0008B306
	global_atomic_add_f32 v6, v183, s[8:9] offset:776          // 00000000C458: DD348308 0008B706
	s_mov_b64 exec, s[36:37]                                   // 00000000C460: BEFE0124
	s_branch label_269D                                        // 00000000C464: BF820000

000000000000c468 <label_269D>:
	s_waitcnt vmcnt(0) expcnt(0) lgkmcnt(0)                    // 00000000C468: BF8C0000
	s_endpgm                                                   // 00000000C46C: BF810000
